;; amdgpu-corpus repo=ROCm/Tensile kind=harvested arch=n/a opt=n/a

/******************************************/
/* Function Prefix                        */
/******************************************/



/******************************************/
/* Begin Kernel                           */
/******************************************/

// Component.Signature.SignatureDefault
.amdgcn_target "amdgcn-amd-amdhsa--gfx90a"
.text
.protected Cijk_AlikC_Bljk_ZB_MT8x8x32_MI4x4x4x4_SN_1LDSB0_APM1_ABV0_ACED0_AF0EM1_AF1EM1_AMAS0_ASE_ASGT_ASLT19_ASEM1_AAC0_BL1_BS1_CLR0_DTVA0_DVO0_ETSP_EPS1_EMLL0_FL2_GLVWA1_GLVWB1_GRPM1_GRVW1_GSU17_GSUAMB_GLS0_ISA90a_IU1_K1_KLA_LBSPPA512_LBSPPB512_LPA1_LPB1_LDL1_LRVW1_LWPMn1_LDW0_FMA_MIAV1_MO40_MMFGLC_NTA0_NTB0_NTC0_NTD0_NEPBS4_NLCA1_NLCB1_ONLL1_OPLV0_PK0_PAP0_PGR2_PLR9_SIA3_SS1_SU0_SUM0_SUS0_SCIUI1_SPO0_SRVW0_SSO0_SVW1_SNLL0_TSGRA0_TSGRB0_TT1_4_TLDS1_UMLDSA1_UMLDSB1_USFGROn1_VAW1_VSn1_VW1_VWB1_VFLRP0_WSGRA0_WSGRB0_WG8_8_1_WGM8
.globl Cijk_AlikC_Bljk_ZB_MT8x8x32_MI4x4x4x4_SN_1LDSB0_APM1_ABV0_ACED0_AF0EM1_AF1EM1_AMAS0_ASE_ASGT_ASLT19_ASEM1_AAC0_BL1_BS1_CLR0_DTVA0_DVO0_ETSP_EPS1_EMLL0_FL2_GLVWA1_GLVWB1_GRPM1_GRVW1_GSU17_GSUAMB_GLS0_ISA90a_IU1_K1_KLA_LBSPPA512_LBSPPB512_LPA1_LPB1_LDL1_LRVW1_LWPMn1_LDW0_FMA_MIAV1_MO40_MMFGLC_NTA0_NTB0_NTC0_NTD0_NEPBS4_NLCA1_NLCB1_ONLL1_OPLV0_PK0_PAP0_PGR2_PLR9_SIA3_SS1_SU0_SUM0_SUS0_SCIUI1_SPO0_SRVW0_SSO0_SVW1_SNLL0_TSGRA0_TSGRB0_TT1_4_TLDS1_UMLDSA1_UMLDSB1_USFGROn1_VAW1_VSn1_VW1_VWB1_VFLRP0_WSGRA0_WSGRB0_WG8_8_1_WGM8
.p2align 8
.type Cijk_AlikC_Bljk_ZB_MT8x8x32_MI4x4x4x4_SN_1LDSB0_APM1_ABV0_ACED0_AF0EM1_AF1EM1_AMAS0_ASE_ASGT_ASLT19_ASEM1_AAC0_BL1_BS1_CLR0_DTVA0_DVO0_ETSP_EPS1_EMLL0_FL2_GLVWA1_GLVWB1_GRPM1_GRVW1_GSU17_GSUAMB_GLS0_ISA90a_IU1_K1_KLA_LBSPPA512_LBSPPB512_LPA1_LPB1_LDL1_LRVW1_LWPMn1_LDW0_FMA_MIAV1_MO40_MMFGLC_NTA0_NTB0_NTC0_NTD0_NEPBS4_NLCA1_NLCB1_ONLL1_OPLV0_PK0_PAP0_PGR2_PLR9_SIA3_SS1_SU0_SUM0_SUS0_SCIUI1_SPO0_SRVW0_SSO0_SVW1_SNLL0_TSGRA0_TSGRB0_TT1_4_TLDS1_UMLDSA1_UMLDSB1_USFGROn1_VAW1_VSn1_VW1_VWB1_VFLRP0_WSGRA0_WSGRB0_WG8_8_1_WGM8,@function
.section .rodata,#alloc
.p2align 6
.amdhsa_kernel Cijk_AlikC_Bljk_ZB_MT8x8x32_MI4x4x4x4_SN_1LDSB0_APM1_ABV0_ACED0_AF0EM1_AF1EM1_AMAS0_ASE_ASGT_ASLT19_ASEM1_AAC0_BL1_BS1_CLR0_DTVA0_DVO0_ETSP_EPS1_EMLL0_FL2_GLVWA1_GLVWB1_GRPM1_GRVW1_GSU17_GSUAMB_GLS0_ISA90a_IU1_K1_KLA_LBSPPA512_LBSPPB512_LPA1_LPB1_LDL1_LRVW1_LWPMn1_LDW0_FMA_MIAV1_MO40_MMFGLC_NTA0_NTB0_NTC0_NTD0_NEPBS4_NLCA1_NLCB1_ONLL1_OPLV0_PK0_PAP0_PGR2_PLR9_SIA3_SS1_SU0_SUM0_SUS0_SCIUI1_SPO0_SRVW0_SSO0_SVW1_SNLL0_TSGRA0_TSGRB0_TT1_4_TLDS1_UMLDSA1_UMLDSB1_USFGROn1_VAW1_VSn1_VW1_VWB1_VFLRP0_WSGRA0_WSGRB0_WG8_8_1_WGM8
  .amdhsa_user_sgpr_kernarg_segment_ptr 1
  .amdhsa_user_sgpr_kernarg_preload_offset 0
  .amdhsa_user_sgpr_kernarg_preload_length 0
  .amdhsa_user_sgpr_count 2
  .amdhsa_accum_offset 256 // accvgpr offset
  .amdhsa_next_free_vgpr 256 // vgprs
  .amdhsa_next_free_sgpr 72 // sgprs
  .amdhsa_group_segment_fixed_size 24960 // lds bytes
  .amdhsa_private_segment_fixed_size 0
  .amdhsa_system_sgpr_workgroup_id_x 1
  .amdhsa_system_sgpr_workgroup_id_y 1
  .amdhsa_system_sgpr_workgroup_id_z 1
  .amdhsa_system_vgpr_workitem_id 0
  .amdhsa_float_denorm_mode_32 3
  .amdhsa_float_denorm_mode_16_64 3
.end_amdhsa_kernel
.text

/******************************************/
/* Optimizations and Config:              */
/******************************************/
/* ThreadTile= 1 x 1 */
/* SubGroup= 8 x 8 */
/* VectorWidthA=1 */
/* VectorWidthB=1 */
/* GlobalLoadVectorWidthA=1, GlobalLoadVectorWidthB=1 */
/* DirectToLdsA=False */
/* DirectToLdsB=False */
/* UseSgprForGRO=1 */
.amdgpu_metadata
---
amdhsa.version:
  - 1
  - 1
amdhsa.target: amdgcn-amd-amdhsa--gfx90a
amdhsa.kernels:
  - .name: Cijk_AlikC_Bljk_ZB_MT8x8x32_MI4x4x4x4_SN_1LDSB0_APM1_ABV0_ACED0_AF0EM1_AF1EM1_AMAS0_ASE_ASGT_ASLT19_ASEM1_AAC0_BL1_BS1_CLR0_DTVA0_DVO0_ETSP_EPS1_EMLL0_FL2_GLVWA1_GLVWB1_GRPM1_GRVW1_GSU17_GSUAMB_GLS0_ISA90a_IU1_K1_KLA_LBSPPA512_LBSPPB512_LPA1_LPB1_LDL1_LRVW1_LWPMn1_LDW0_FMA_MIAV1_MO40_MMFGLC_NTA0_NTB0_NTC0_NTD0_NEPBS4_NLCA1_NLCB1_ONLL1_OPLV0_PK0_PAP0_PGR2_PLR9_SIA3_SS1_SU0_SUM0_SUS0_SCIUI1_SPO0_SRVW0_SSO0_SVW1_SNLL0_TSGRA0_TSGRB0_TT1_4_TLDS1_UMLDSA1_UMLDSB1_USFGROn1_VAW1_VSn1_VW1_VWB1_VFLRP0_WSGRA0_WSGRB0_WG8_8_1_WGM8
    .symbol: 'Cijk_AlikC_Bljk_ZB_MT8x8x32_MI4x4x4x4_SN_1LDSB0_APM1_ABV0_ACED0_AF0EM1_AF1EM1_AMAS0_ASE_ASGT_ASLT19_ASEM1_AAC0_BL1_BS1_CLR0_DTVA0_DVO0_ETSP_EPS1_EMLL0_FL2_GLVWA1_GLVWB1_GRPM1_GRVW1_GSU17_GSUAMB_GLS0_ISA90a_IU1_K1_KLA_LBSPPA512_LBSPPB512_LPA1_LPB1_LDL1_LRVW1_LWPMn1_LDW0_FMA_MIAV1_MO40_MMFGLC_NTA0_NTB0_NTC0_NTD0_NEPBS4_NLCA1_NLCB1_ONLL1_OPLV0_PK0_PAP0_PGR2_PLR9_SIA3_SS1_SU0_SUM0_SUS0_SCIUI1_SPO0_SRVW0_SSO0_SVW1_SNLL0_TSGRA0_TSGRB0_TT1_4_TLDS1_UMLDSA1_UMLDSB1_USFGROn1_VAW1_VSn1_VW1_VWB1_VFLRP0_WSGRA0_WSGRB0_WG8_8_1_WGM8.kd'
    .language:                   OpenCL C
    .language_version:
      - 2
      - 0
    .args:
      - .name:            Tensor2dSizeA
        .size:            8
        .offset:          0
        .value_kind:      by_value
        .value_type:      u64
      - .name:            Tensor2dSizeB
        .size:            8
        .offset:          8
        .value_kind:      by_value
        .value_type:      u64
      - .name:            AddressD
        .size:            8
        .offset:          16
        .value_kind:      by_value
        .value_type:      u64
      - .name:            AddressC
        .size:            8
        .offset:          24
        .value_kind:      by_value
        .value_type:      u64
      - .name:            AddressA
        .size:            8
        .offset:          32
        .value_kind:      by_value
        .value_type:      u64
      - .name:            AddressB
        .size:            8
        .offset:          40
        .value_kind:      by_value
        .value_type:      u64
      - .name:            Alpha
        .size:            16
        .offset:          48
        .value_kind:      by_value
        .value_type:      u128
      - .name:            Beta
        .size:            16
        .offset:          64
        .value_kind:      by_value
        .value_type:      u128
      - .name:            StridesD
        .size:            8
        .offset:          80
        .value_kind:      by_value
        .value_type:      u64
      - .name:            StridesC
        .size:            8
        .offset:          88
        .value_kind:      by_value
        .value_type:      u64
      - .name:            StridesA
        .size:            8
        .offset:          96
        .value_kind:      by_value
        .value_type:      u64
      - .name:            StridesB
        .size:            8
        .offset:          104
        .value_kind:      by_value
        .value_type:      u64
      - .name:            SizesFree
        .size:            12
        .offset:          112
        .value_kind:      by_value
        .value_type:      u96
      - .name:            SizesSum
        .size:            4
        .offset:          124
        .value_kind:      by_value
        .value_type:      u32
      - .name:            NumWorkGroups0
        .size:            4
        .offset:          128
        .value_kind:      by_value
        .value_type:      u32
      - .name:            NumWorkGroups1
        .size:            4
        .offset:          132
        .value_kind:      by_value
        .value_type:      u32
      - .name:            NumFullBlocks
        .size:            4
        .offset:          136
        .value_kind:      by_value
        .value_type:      u32
      - .name:            WgmRemainder1
        .size:            4
        .offset:          140
        .value_kind:      by_value
        .value_type:      u32
      - .name:            MagicNumberWgmRemainder1
        .size:            4
        .offset:          144
        .value_kind:      by_value
        .value_type:      u32
    .group_segment_fixed_size:   24960
    .kernarg_segment_align:      8
    .kernarg_segment_size:       152
    .max_flat_workgroup_size:    64
    .private_segment_fixed_size: 0
    .sgpr_count:                 72
    .sgpr_spill_count:           0
    .vgpr_count:                 256
    .vgpr_spill_count:           0
    .wavefront_size:             64
...
.end_amdgpu_metadata
Cijk_AlikC_Bljk_ZB_MT8x8x32_MI4x4x4x4_SN_1LDSB0_APM1_ABV0_ACED0_AF0EM1_AF1EM1_AMAS0_ASE_ASGT_ASLT19_ASEM1_AAC0_BL1_BS1_CLR0_DTVA0_DVO0_ETSP_EPS1_EMLL0_FL2_GLVWA1_GLVWB1_GRPM1_GRVW1_GSU17_GSUAMB_GLS0_ISA90a_IU1_K1_KLA_LBSPPA512_LBSPPB512_LPA1_LPB1_LDL1_LRVW1_LWPMn1_LDW0_FMA_MIAV1_MO40_MMFGLC_NTA0_NTB0_NTC0_NTD0_NEPBS4_NLCA1_NLCB1_ONLL1_OPLV0_PK0_PAP0_PGR2_PLR9_SIA3_SS1_SU0_SUM0_SUS0_SCIUI1_SPO0_SRVW0_SSO0_SVW1_SNLL0_TSGRA0_TSGRB0_TT1_4_TLDS1_UMLDSA1_UMLDSB1_USFGROn1_VAW1_VSn1_VW1_VWB1_VFLRP0_WSGRA0_WSGRB0_WG8_8_1_WGM8:

/******************************************/
/* Asm syntax workarounds                 */
/******************************************/
.macro _v_add_co_u32 dst:req, cc:req, src0:req, src1:req, dpp=
   v_add_co_u32 \dst, \cc, \src0, \src1 \dpp
.endm

.macro _v_add_u32 dst:req, src0:req, src1:req, dpp=
   v_add_u32 \dst, \src0, \src1 \dpp
.endm

.macro _v_add_i32 dst:req, src0:req, src1:req, dpp=
   v_add_i32 \dst, \src0, \src1 \dpp
.endm

.macro _v_addc_co_u32 dst:req, ccOut:req, src0:req, ccIn:req, src1:req, dpp=
   v_addc_co_u32 \dst, \ccOut, \src0, \ccIn, \src1 \dpp
.endm

.macro _v_sub_co_u32 dst:req, cc:req, src0:req, src1:req, dpp=
   v_sub_co_u32 \dst, \cc, \src0, \src1 \dpp
.endm

.macro _v_sub_u32 dst:req, src0:req, src1:req, dpp=
   v_sub_u32 \dst, \src0, \src1 \dpp
.endm

.macro _v_sub_i32 dst:req, src0:req, src1:req, dpp=
   v_sub_i32 \dst, \src0, \src1 \dpp
.endm

.macro _v_add_lshl_u32 dst:req, src0:req, src1:req, shiftCnt:req
    v_add_lshl_u32 \dst, \src0, \src1, \shiftCnt
.endm

.macro _v_lshl_add_u32 dst:req, src0:req, src1:req, shiftCnt:req
    v_lshl_add_u32 \dst, \src0, \src1, \shiftCnt
.endm

.macro _v_lshl_or_b32 dst:req, src0:req, shiftCnt:req, src1:req
    v_lshl_or_b32 \dst, \src0, \shiftCnt, \src1
.endm

.macro _v_dot2acc_f32_f16 dst, src0, src1
v_dot2c_f32_f16 \dst, \src0, \src1
.endm

.macro _v_cmpx_lt_i16 dst, src0, src1=
   v_cmpx_lt_i16 \dst, \src0, \src1 
.endm

.macro _v_cmpx_lt_i32 dst, src0, src1=
   v_cmpx_lt_i32 \dst, \src0, \src1 
.endm

.macro _v_cmpx_lt_i64 dst, src0, src1=
   v_cmpx_lt_i64 \dst, \src0, \src1 
.endm

.macro _v_cmpx_lt_u16 dst, src0, src1=
   v_cmpx_lt_u16 \dst, \src0, \src1 
.endm

.macro _v_cmpx_lt_u32 dst, src0, src1=
   v_cmpx_lt_u32 \dst, \src0, \src1 
.endm

.macro _v_cmpx_lt_u64 dst, src0, src1=
   v_cmpx_lt_u64 \dst, \src0, \src1 
.endm

.macro _v_cmpx_eq_i16 dst, src0, src1=
   v_cmpx_eq_i16 \dst, \src0, \src1 
.endm

.macro _v_cmpx_eq_i32 dst, src0, src1=
   v_cmpx_eq_i32 \dst, \src0, \src1 
.endm

.macro _v_cmpx_eq_i64 dst, src0, src1=
   v_cmpx_eq_i64 \dst, \src0, \src1 
.endm

.macro _v_cmpx_eq_u16 dst, src0, src1=
   v_cmpx_eq_u16 \dst, \src0, \src1 
.endm

.macro _v_cmpx_eq_u32 dst, src0, src1=
   v_cmpx_eq_u32 \dst, \src0, \src1 
.endm

.macro _v_cmpx_eq_u64 dst, src0, src1=
   v_cmpx_eq_u64 \dst, \src0, \src1 
.endm

.macro _v_cmpx_le_i16 dst, src0, src1=
   v_cmpx_le_i16 \dst, \src0, \src1 
.endm

.macro _v_cmpx_le_i32 dst, src0, src1=
   v_cmpx_le_i32 \dst, \src0, \src1 
.endm

.macro _v_cmpx_le_i64 dst, src0, src1=
   v_cmpx_le_i64 \dst, \src0, \src1 
.endm

.macro _v_cmpx_le_u16 dst, src0, src1=
   v_cmpx_le_u16 \dst, \src0, \src1 
.endm

.macro _v_cmpx_le_u32 dst, src0, src1=
   v_cmpx_le_u32 \dst, \src0, \src1 
.endm

.macro _v_cmpx_le_u64 dst, src0, src1=
   v_cmpx_le_u64 \dst, \src0, \src1 
.endm

.macro _v_cmpx_gt_i16 dst, src0, src1=
   v_cmpx_gt_i16 \dst, \src0, \src1 
.endm

.macro _v_cmpx_gt_i32 dst, src0, src1=
   v_cmpx_gt_i32 \dst, \src0, \src1 
.endm

.macro _v_cmpx_gt_i64 dst, src0, src1=
   v_cmpx_gt_i64 \dst, \src0, \src1 
.endm

.macro _v_cmpx_gt_u16 dst, src0, src1=
   v_cmpx_gt_u16 \dst, \src0, \src1 
.endm

.macro _v_cmpx_gt_u32 dst, src0, src1=
   v_cmpx_gt_u32 \dst, \src0, \src1 
.endm

.macro _v_cmpx_gt_u64 dst, src0, src1=
   v_cmpx_gt_u64 \dst, \src0, \src1 
.endm

.macro _v_cmpx_ne_i16 dst, src0, src1=
   v_cmpx_ne_i16 \dst, \src0, \src1 
.endm

.macro _v_cmpx_ne_i32 dst, src0, src1=
   v_cmpx_ne_i32 \dst, \src0, \src1 
.endm

.macro _v_cmpx_ne_i64 dst, src0, src1=
   v_cmpx_ne_i64 \dst, \src0, \src1 
.endm

.macro _v_cmpx_ne_u16 dst, src0, src1=
   v_cmpx_ne_u16 \dst, \src0, \src1 
.endm

.macro _v_cmpx_ne_u32 dst, src0, src1=
   v_cmpx_ne_u32 \dst, \src0, \src1 
.endm

.macro _v_cmpx_ne_u64 dst, src0, src1=
   v_cmpx_ne_u64 \dst, \src0, \src1 
.endm

.macro _v_cmpx_lg_i16 dst, src0, src1=
   v_cmpx_lg_i16 \dst, \src0, \src1 
.endm

.macro _v_cmpx_lg_i32 dst, src0, src1=
   v_cmpx_lg_i32 \dst, \src0, \src1 
.endm

.macro _v_cmpx_lg_i64 dst, src0, src1=
   v_cmpx_lg_i64 \dst, \src0, \src1 
.endm

.macro _v_cmpx_lg_u16 dst, src0, src1=
   v_cmpx_lg_u16 \dst, \src0, \src1 
.endm

.macro _v_cmpx_lg_u32 dst, src0, src1=
   v_cmpx_lg_u32 \dst, \src0, \src1 
.endm

.macro _v_cmpx_lg_u64 dst, src0, src1=
   v_cmpx_lg_u64 \dst, \src0, \src1 
.endm

.macro _v_cmpx_ge_i16 dst, src0, src1=
   v_cmpx_ge_i16 \dst, \src0, \src1 
.endm

.macro _v_cmpx_ge_i32 dst, src0, src1=
   v_cmpx_ge_i32 \dst, \src0, \src1 
.endm

.macro _v_cmpx_ge_i64 dst, src0, src1=
   v_cmpx_ge_i64 \dst, \src0, \src1 
.endm

.macro _v_cmpx_ge_u16 dst, src0, src1=
   v_cmpx_ge_u16 \dst, \src0, \src1 
.endm

.macro _v_cmpx_ge_u32 dst, src0, src1=
   v_cmpx_ge_u32 \dst, \src0, \src1 
.endm

.macro _v_cmpx_ge_u64 dst, src0, src1=
   v_cmpx_ge_u64 \dst, \src0, \src1 
.endm

.macro _v_cmpx_o_i16 dst, src0, src1=
   v_cmpx_o_i16 \dst, \src0, \src1 
.endm

.macro _v_cmpx_o_i32 dst, src0, src1=
   v_cmpx_o_i32 \dst, \src0, \src1 
.endm

.macro _v_cmpx_o_i64 dst, src0, src1=
   v_cmpx_o_i64 \dst, \src0, \src1 
.endm

.macro _v_cmpx_o_u16 dst, src0, src1=
   v_cmpx_o_u16 \dst, \src0, \src1 
.endm

.macro _v_cmpx_o_u32 dst, src0, src1=
   v_cmpx_o_u32 \dst, \src0, \src1 
.endm

.macro _v_cmpx_o_u64 dst, src0, src1=
   v_cmpx_o_u64 \dst, \src0, \src1 
.endm

.macro _v_cmpx_u_i16 dst, src0, src1=
   v_cmpx_u_i16 \dst, \src0, \src1 
.endm

.macro _v_cmpx_u_i32 dst, src0, src1=
   v_cmpx_u_i32 \dst, \src0, \src1 
.endm

.macro _v_cmpx_u_i64 dst, src0, src1=
   v_cmpx_u_i64 \dst, \src0, \src1 
.endm

.macro _v_cmpx_u_u16 dst, src0, src1=
   v_cmpx_u_u16 \dst, \src0, \src1 
.endm

.macro _v_cmpx_u_u32 dst, src0, src1=
   v_cmpx_u_u32 \dst, \src0, \src1 
.endm

.macro _v_cmpx_u_u64 dst, src0, src1=
   v_cmpx_u_u64 \dst, \src0, \src1 
.endm
.macro _v_mac_f32 c:req, a:req, b:req
    v_fmac_f32 \c, \a, \b
.endmacro

/* scale global load macros */
.macro _s_load_b32 dst base offset
    s_load_dword \dst \base \offset
.endm

.macro _s_load_b64 dst base offset
    s_load_dwordx2 \dst \base \offset
.endm

.macro _s_load_b128 dst base offset
    s_load_dwordx4 \dst \base \offset
.endm

.macro _s_load_b256 dst base offset
    s_load_dwordx8 \dst \base \offset
.endm

.macro _s_load_b512 dst base offset
    s_load_dwordx16 \dst \base \offset
.endm


/* ds operation macros */
.macro _ds_load_u8 dst src offset
    ds_read_u8 \dst \src \offset
.endm

.macro _ds_load_u8_d16_hi dst src offset
    ds_read_u8_d16_hi \dst \src \offset
.endm

.macro _ds_load_u16 dst src offset
    ds_read_u16 \dst \src \offset
.endm

.macro _ds_load_u16_d16_hi dst src offset
    ds_read_u16_d16_hi \dst \src \offset
.endm

.macro _ds_load_b32 dst src offset
    ds_read_b32 \dst \src \offset
.endm

.macro _ds_load_b64 dst src offset
    ds_read_b64 \dst \src \offset
.endm

.macro _ds_load_b128 dst src offset
    ds_read_b128 \dst \src \offset
.endm

.macro _ds_store_b8 dst src offset
    ds_write_b8 \dst \src \offset
.endm

.macro _ds_store_b8_d16_hi dst src offset
    ds_write_b8_d16_hi \dst \src \offset
.endm

.macro _ds_store_b16 dst src offset
    ds_write_b16 \dst \src \offset
.endm

.macro _ds_store_b16_d16_hi dst src offset
    ds_write_b16_d16_hi \dst \src \offset
.endm

.macro _ds_store_b32 dst src offset
    ds_write_b32 \dst \src \offset
.endm

.macro _ds_store_b64 dst src offset
    ds_write_b64 \dst \src \offset
.endm

.macro _ds_store_b128 dst src offset
    ds_write_b128 \dst \src \offset
.endm

.macro _ds_load2_b32 dst src offset1 offset2
    ds_read2_b32 \dst \src \offset1 \offset2
.endm

.macro _ds_load2_b64 dst src offset1 offset2
    ds_read2_b64 \dst \src \offset1 \offset2
.endm

.macro _ds_store2_b32 dst src offset1 offset2
    ds_write2_b32 \dst \src \offset1 \offset2
.endm

.macro _ds_store2_b64 dst src offset1 offset2
    ds_write2_b64 \dst \src \offset1 \offset2
.endm


/* buffer memory operation macros */
.macro _buffer_load_b32 dst voffset base soffset offen ioffset md0 md1 md2
    buffer_load_dword \dst \voffset \base \soffset \offen \ioffset \md0 \md1 \md2
.endm

.macro _buffer_load_b64 dst voffset base soffset offen ioffset md0 md1 md2
    buffer_load_dwordx2 \dst \voffset \base \soffset \offen \ioffset \md0 \md1 \md2
.endm

.macro _buffer_load_b96 dst voffset base soffset offen ioffset md0 md1 md2
    buffer_load_dwordx3 \dst \voffset \base \soffset \offen \ioffset \md0 \md1 \md2
.endm

.macro _buffer_load_b128 dst voffset base soffset offen ioffset md0 md1 md2
    buffer_load_dwordx4 \dst \voffset \base \soffset \offen \ioffset \md0 \md1 \md2
.endm

.macro _buffer_load_d16_b16 dst voffset base soffset offen ioffset md0 md1 md2
    buffer_load_short_d16 \dst \voffset \base \soffset \offen \ioffset \md0 \md1 \md2
.endm

.macro _buffer_load_d16_hi_b16 dst voffset base soffset offen ioffset md0 md1 md2
    buffer_load_short_d16_hi \dst \voffset \base \soffset \offen \ioffset \md0 \md1 \md2
.endm

.macro _buffer_load_d16_u8 dst voffset base soffset offen ioffset md0 md1 md2
    buffer_load_ubyte_d16 \dst \voffset \base \soffset \offen \ioffset \md0 \md1 \md2
.endm

.macro _buffer_load_d16_hi_u8 dst voffset base soffset offen ioffset md0 md1 md2
    buffer_load_ubyte_d16_hi \dst \voffset \base \soffset \offen \ioffset \md0 \md1 \md2
.endm

.macro _buffer_load_u16 dst voffset base soffset offen ioffset md0 md1 md2
    buffer_load_ushort \dst \voffset \base \soffset \offen \ioffset \md0 \md1 \md2
.endm

.macro _buffer_load_b32_dtl voffset base soffset offen ioffset md0 md1 md2
    buffer_load_dword \voffset \base \soffset \offen \ioffset \md0 \md1 \md2
.endm

.macro _buffer_load_b64_dtl voffset base soffset offen ioffset md0 md1 md2
    buffer_load_dwordx2 \voffset \base \soffset \offen \ioffset \md0 \md1 \md2
.endm

.macro _buffer_load_b128_dtl voffset base soffset offen ioffset md0 md1 md2
    buffer_load_dwordx4 \voffset \base \soffset \offen \ioffset \md0 \md1 \md2
.endm

.macro _buffer_load_u16_dtl voffset base soffset offen ioffset md0 md1 md2
    buffer_load_ushort \voffset \base \soffset \offen \ioffset \md0 \md1 \md2
.endm

.macro _buffer_store_b32 src voffset base soffset offen ioffset md0 md1 md2
    buffer_store_dword \src \voffset \base \soffset \offen \ioffset \md0 \md1 \md2
.endm

.macro _buffer_store_b64 src voffset base soffset offen ioffset md0 md1 md2
    buffer_store_dwordx2 \src \voffset \base \soffset \offen \ioffset \md0 \md1 \md2
.endm

.macro _buffer_store_b96 src voffset base soffset offen ioffset md0 md1 md2
    buffer_store_dwordx3 \src \voffset \base \soffset \offen \ioffset \md0 \md1 \md2
.endm

.macro _buffer_store_b128 src voffset base soffset offen ioffset md0 md1 md2
    buffer_store_dwordx4 \src \voffset \base \soffset \offen \ioffset \md0 \md1 \md2
.endm

.macro _buffer_store_b16 src voffset base soffset offen ioffset md0 md1 md2
    buffer_store_short \src \voffset \base \soffset \offen \ioffset \md0 \md1 \md2
.endm

.macro _buffer_store_d16_hi_b16 src voffset base soffset offen ioffset md0 md1 md2
    buffer_store_short_d16_hi \src \voffset \base \soffset \offen \ioffset \md0 \md1 \md2
.endm

.macro _buffer_store_b8 src voffset base soffset offen ioffset md0 md1 md2
    buffer_store_byte \src \voffset \base \soffset \offen \ioffset \md0 \md1 \md2
.endm

.macro _buffer_store_d16_hi_b8 src voffset base soffset offen ioffset md0 md1 md2
    buffer_store_byte_d16_hi \src \voffset \base \soffset \offen \ioffset \md0 \md1 \md2
.endm

.macro _buffer_atomic_cmpswap_b32 dst voffset base soffset offen ioffset md0 md1 md2
    buffer_atomic_cmpswap \dst \voffset \base \soffset \offen \ioffset \md0 \md1 \md2
.endm

.macro _buffer_atomic_cmpswap_b64 dst voffset base soffset offen ioffset md0 md1 md2
    buffer_atomic_cmpswap_x2 \dst \voffset \base \soffset \offen \ioffset \md0 \md1 \md2
.endm


/* buffer memory operation macros */
.macro _global_load_b32 dst base src ioffset md0 md1 md2
    global_load_dword \dst \base \src \ioffset \md0 \md1 \md2
.endm

.macro _global_load_b64 dst base src ioffset md0 md1 md2
    global_load_dwordx2 \dst \base \src \ioffset \md0 \md1 \md2
.endm

.macro _global_load_b96 dst base src ioffset md0 md1 md2
    global_load_dwordx3 \dst \base \src \ioffset \md0 \md1 \md2
.endm

.macro _global_load_b128 dst base src ioffset md0 md1 md2
    global_load_dwordx4 \dst \base \src \ioffset \md0 \md1 \md2
.endm

.macro _global_load_d16_b16 dst base src ioffset md0 md1 md2
    global_load_short_d16 \dst \base \src \ioffset \md0 \md1 \md2
.endm

.macro _global_load_d16_hi_b16 dst base src ioffset md0 md1 md2
    global_load_short_d16_hi \dst \base \src \ioffset \md0 \md1 \md2
.endm

.macro _global_load_d16_u8 dst base src ioffset md0 md1 md2
    global_load_ubyte_d16 \dst \base \src \ioffset \md0 \md1 \md2
.endm

.macro _global_load_d16_hi_u8 dst base src ioffset md0 md1 md2
    global_load_ubyte_d16_hi \dst \base \src \ioffset \md0 \md1 \md2
.endm

.macro _global_load_u16 dst base src ioffset md0 md1 md2
    global_load_ushort \dst \base \src \ioffset \md0 \md1 \md2
.endm

.macro _global_store_b32 base src src2 md0 md1 md2
    global_store_dword \base \src \src2 \md0 \md1 \md2
.endm

.macro _global_store_b64 base src src2 md0 md1 md2
    global_store_dwordx2 \base \src \src2 \md0 \md1 \md2
.endm

.macro _global_store_b96 base src src2 md0 md1 md2
    global_store_dwordx3 \base \src \src2 \md0 \md1 \md2
.endm

.macro _global_store_b128 base src src2 md0 md1 md2
    global_store_dwordx4 \base \src \src2 \md0 \md1 \md2
.endm

.macro _global_store_d16_b16 base src src2 md0 md1 md2
    global_store_short \base \src \src2 \md0 \md1 \md2
.endm

.macro _global_store_d16_hi_b16 base src src2 md0 md1 md2
    global_store_short_d16_hi \base \src \src2 \md0 \md1 \md2
.endm

.macro _global_store_d16_u8 base src src2 md0 md1 md2
    global_store_ubyte_d16 \base \src \src2 \md0 \md1 \md2
.endm

.macro _global_store_d16_hi_u8 base src src2 md0 md1 md2
    global_store_ubyte_d16_hi \base \src \src2 \md0 \md1 \md2
.endm

.macro _global_store_u16 base src src2 md0 md1 md2
    global_store_ushort \base \src \src2 \md0 \md1 \md2
.endm

.macro _global_atomic_cmpswap_b32 tmp base data src ioffset md
    global_atomic_cmpswap \tmp \base \data \src \ioffset \md
.endm

.macro _global_atomic_cmpswap_b64 tmp base data src ioffset md
    global_atomic_cmpswap_x2 \tmp \base \data \src \ioffset \md
.endm


/******************************************/
/* Magic div and mod functions            */
/******************************************/
.macro V_MAGIC_DIV dstIdx:req, dividend:req, magicNumber:req, magicShift:req, magicA:req
    v_mul_hi_u32 v[\dstIdx+1], \dividend, \magicNumber
    v_mul_lo_u32 v[\dstIdx+0], \dividend, \magicA
    _v_add_u32 v[\dstIdx+0], v[\dstIdx+0], v[\dstIdx+1]
    v_lshrrev_b32 v[\dstIdx+0], \magicShift, v[\dstIdx+0]
.endm

/******************************************/
/* VGPR Assignments                       */
/******************************************/
/* ValuC range: [0-4), serializedStore enabled */
.set vgprValuC, 0
/* ValuA/B   Xn=PLR buffer idx,  In=InnerUnroll idx */
.set vgprValuA_X0_I0, 4
.set vgprValuA_X1_I0, 8
.set vgprValuA_X2_I0, 12
.set vgprValuA_X3_I0, 16
.set vgprValuA_X4_I0, 20
.set vgprValuA_X5_I0, 24
.set vgprValuA_X6_I0, 28
.set vgprValuA_X7_I0, 32
.set vgprG2LA, 72
.set vgprValuB_X0_I0, 36
.set vgprValuB_X1_I0, 40
.set vgprValuB_X2_I0, 44
.set vgprValuB_X3_I0, 48
.set vgprValuB_X4_I0, 52
.set vgprValuB_X5_I0, 56
.set vgprValuB_X6_I0, 60
.set vgprValuB_X7_I0, 64
.set vgprG2LB, 88
.set vgprLocalWriteAddrA, 68
.set vgprLocalWriteAddrB, 69
.set vgprGlobalReadOffsetA, 70
.set vgprGlobalReadOffsetB, 71
.set vgprLocalReadAddrA, 104
.set vgprLocalReadAddrB, 105
.set vgprSerial, 106
/* Num VGPR=256 */
/* Num AccVGPR=0 */

/******************************************/
/* SGPR Assignments                       */
/******************************************/
.set sgprKernArgAddress, 0 // (2)
.set sgprWorkGroup0, 2 // (1)
.set sgprWorkGroup1, 3 // (1)
.set sgprWorkGroup2, 4 // (1)
.set sgprGSUSumIdx, 5 // (2)
.set sgprLoopCounterL, 7 // (1)
.set sgprOrigLoopCounter, 8 // (1)
.set sgprSrdA, 12 // (4)
.set sgprSrdB, 16 // (4)
.set sgprSrdD, 20 // (4)
.set sgprSrdC, 24 // (4)
.set sgprTensor2dSizeA, 28 // (2)
.set sgprTensor2dSizeB, 30 // (2)
.set sgprAddressD, 32 // (2)
.set sgprAddressC, 34 // (2)
.set sgprAddressA, 36 // (2)
.set sgprAddressB, 38 // (2)
.set sgprAlpha, 40 // (4)
.set sgprBeta, 44 // (4)
.set sgprStridesD, 48 // (2)
.set sgprStridesC, 50 // (2)
.set sgprStridesA, 52 // (2)
.set sgprStridesB, 54 // (2)
.set sgprSizesFree, 56 // (3)
.set sgprSizesSum, 59 // (1)
.set sgprNumWorkGroups0, 60 // (1)
.set sgprNumWorkGroups1, 61 // (1)
.set sgprNumFullBlocks, 62 // (1)
.set sgprWgmRemainder1, 63 // (1)
.set sgprMagicNumberWgmRemainder1, 64 // (1)
.set sgprShadowLimitA, 0 // (2)
.set sgprShadowLimitB, 32 // (2)
.set sgprGlobalReadIncsA, 9 // (1)
.set sgprGlobalReadIncsB, 34 // (1)
.set sgprScalarGlobalReadOffsetA, 35 // (3)
.set sgprScalarGlobalReadOffsetB, 65 // (3)
/* max SGPR=72 */

/* Size Assignments */
.set sgprSizeI, sgprSizesFree+0
.set sgprSizeJ, sgprSizesFree+1
.set sgprSizeK, sgprSizesFree+2
.set sgprSizeL, sgprSizesSum+0

/* Stride Assignments */
.set constStrideD0I, 1
.set sgprStrideD1J, sgprStridesD+0
.set sgprStrideDK, sgprStridesD+1
.set constStrideC0I, 1
.set sgprStrideC1J, sgprStridesC+0
.set sgprStrideCK, sgprStridesC+1
.set constStrideAL, 1
.set sgprStrideA0I, sgprStridesA+0
.set sgprStrideAK, sgprStridesA+1
.set constStrideBL, 1
.set sgprStrideB1J, sgprStridesB+0
.set sgprStrideBK, sgprStridesB+1

.set MT0, 8
.set MT1, 8
.set DepthU, 32
.set GSU, 17
.set BpeA, 16
.set BpeALog2, 4
.set BpeB, 16
.set BpeBLog2, 4
/* Number of elements to shift-left SRD */
.set SrdShiftLeftA, 1
.set SrdShiftLeftB, 1
/* 2GB limit - set offsets to -1 to exceed this and clamp */
.set BufferLimitA, 0xffffffff
.set BufferLimitB, 0xffffffff
.set BufferOOB, 0xfffff000

/******************************************/
/* Bits 127:96 of SRD.                    */
/* hex: 0x00020000                        */
/* dst_sel_x (3b): 0                      */
/* dst_sel_y (3b): 0                      */
/* dst_sel_z (3b): 0                      */
/* dst_sel_w (3b): 0                      */
/* num_format (3b): 0                     */
/* data_format (4b): 4                    */
/* user_vm_enable (1b): 0                 */
/* user_vm_mode (1b): 0                   */
/* index_stride (2b): 0                   */
/* add_tid_enable (1b): 0                 */
/* _unusedA (3b): 0                       */
/* nv (1b): 0                             */
/* _unusedB (2b): 0                       */
/* type (2b): 0                           */
/******************************************/
.set Srd127_96, 0x00020000

/* Global Offset A */
.macro GLOBAL_OFFSET_A vgprAddr:req vgprOffsetL:req vgprOffset0I:req vgprTmp:req
v_mul_lo_u32 v[\vgprTmp+0], s[sgprStrideA0I], v[\vgprOffset0I] // mul d1 lower
_v_add_co_u32 v[\vgprAddr+0], vcc, v[\vgprOffsetL], v[\vgprTmp+0] // accumulate K lower
_v_add_u32 v[\vgprAddr+0], 0x1, v[\vgprAddr+0]     // add prepad for pointer shift
v_lshlrev_b32 v[\vgprAddr+0], 0x4, v[\vgprAddr+0]  // offset *= bytes/element
.endm

/* Global Offset B */
.macro GLOBAL_OFFSET_B vgprAddr:req vgprOffsetL:req vgprOffset1J:req vgprTmp:req
v_mul_lo_u32 v[\vgprTmp+0], s[sgprStrideB1J], v[\vgprOffset1J] // mul d1 lower
_v_add_co_u32 v[\vgprAddr+0], vcc, v[\vgprOffsetL], v[\vgprTmp+0] // accumulate K lower
_v_add_u32 v[\vgprAddr+0], 0x1, v[\vgprAddr+0]     // add prepad for pointer shift
v_lshlrev_b32 v[\vgprAddr+0], 0x4, v[\vgprAddr+0]  // offset *= bytes/element
.endm

/******************************************/
/* Dynamic Scalar Divide: vQuotient=vDividend/vDivisor; vRemainder=vDividend%vDivisor; */
/******************************************/
.macro DYNAMIC_VECTOR_DIVIDE vQuotient vRemainder vDividend vDivisor vTmp0 vTmp1 sTmp
v_cvt_f32_u32 v[\vQuotient], v[\vDivisor]          // 
v_rcp_f32 v[\vQuotient], v[\vQuotient]             // 
v_mul_f32 v[\vQuotient], 0x4f800000, v[\vQuotient] // 
v_cvt_u32_f32 v[\vQuotient], v[\vQuotient]         // 
v_mul_lo_u32 v[\vRemainder], v[\vDivisor], v[\vQuotient] // 
v_mul_hi_u32 v[\vTmp0], v[\vDivisor], v[\vQuotient] // 
_v_sub_co_u32 v[\vTmp1], vcc, 0x0, v[\vRemainder]  // 
v_cmp_ne_i32 s[\sTmp:\sTmp+1], 0x0, v[\vTmp0]      // 
v_cndmask_b32 v[\vRemainder], v[\vTmp1], v[\vRemainder], s[\sTmp:\sTmp+1] // 
v_mul_hi_u32 v[\vRemainder], v[\vRemainder], v[\vQuotient] // 
_v_sub_co_u32 v[\vTmp0], vcc, v[\vQuotient], v[\vRemainder] // 
_v_add_co_u32 v[\vQuotient], vcc, v[\vQuotient], v[\vRemainder] // 
v_cndmask_b32 v[\vQuotient], v[\vQuotient], v[\vTmp0], s[\sTmp:\sTmp+1] // 
v_mul_hi_u32 v[\vQuotient], v[\vQuotient], v[\vDividend] // 
v_mul_lo_u32 v[\vRemainder], v[\vQuotient], v[\vDivisor] // 
_v_sub_co_u32 v[\vTmp0], vcc, v[\vDividend], v[\vRemainder] // 
v_cmp_ge_u32 s[\sTmp:\sTmp+1], v[\vDividend], v[\vRemainder] // 
_v_add_co_u32 v[\vRemainder], vcc, 0x1, v[\vQuotient] // 
_v_add_co_u32 v[\vTmp1], vcc, -1, v[\vQuotient]    // 
v_cmp_le_u32 vcc, v[\vDivisor], v[\vTmp0]          // 
s_and_b64 vcc, s[\sTmp:\sTmp+1], vcc               // 
v_cndmask_b32 v[\vQuotient], v[\vQuotient], v[\vRemainder], vcc // 
v_cndmask_b32 v[\vQuotient], v[\vTmp1], v[\vQuotient], s[\sTmp:\sTmp+1] // 
v_cmp_ne_i32 vcc, 0x0, v[\vDivisor]                // 
v_cndmask_b32 v[\vQuotient], -1, v[\vQuotient], vcc // final result
v_mul_lo_u32 v[\vRemainder], v[\vQuotient], v[\vDivisor] // 
_v_sub_co_u32 v[\vRemainder], vcc, v[\vDividend], v[\vRemainder] // final result
.endm



/******************************************/
/* Allocate Resources                     */
/******************************************/

Cijk_AlikC_Bljk_ZB_MT8x8x32_MI4x4x4x4_SN_1LDSB0_APM1_ABV0_ACED0_AF0EM1_AF1EM1_AMAS0_ASE_ASGT_ASLT19_ASEM1_AAC0_BL1_BS1_CLR0_DTVA0_DVO0_ETSP_EPS1_EMLL0_FL2_GLVWA1_GLVWB1_GRPM1_GRVW1_GSU17_GSUAMB_GLS0_ISA90a_IU1_K1_KLA_LBSPPA512_LBSPPB512_LPA1_LPB1_LDL1_LRVW1_LWPMn1_LDW0_FMA_MIAV1_MO40_MMFGLC_NTA0_NTB0_NTC0_NTD0_NEPBS4_NLCA1_NLCB1_ONLL1_OPLV0_PK0_PAP0_PGR2_PLR9_SIA3_SS1_SU0_SUM0_SUS0_SCIUI1_SPO0_SRVW0_SSO0_SVW1_SNLL0_TSGRA0_TSGRB0_TT1_4_TLDS1_UMLDSA1_UMLDSB1_USFGROn1_VAW1_VSn1_VW1_VWB1_VFLRP0_WSGRA0_WSGRB0_WG8_8_1_WGM8_preloaded: // Kernel start when preloading

/* Load Kernel Args */
_s_load_b512 s[28:43], s[sgprKernArgAddress:sgprKernArgAddress+1], 0x0 // 
_s_load_b512 s[44:59], s[sgprKernArgAddress:sgprKernArgAddress+1], 0x40 // 
_s_load_b128 s[60:63], s[sgprKernArgAddress:sgprKernArgAddress+1], 0x80 // 
_s_load_b32 s64, s[sgprKernArgAddress:sgprKernArgAddress+1], 0x90 // 
s_mov_b32 m0, 0x6180                               // LDS clamp at 24960 bytes
v_mov_b32 v[vgprSerial], v0                        // thread serial id

/******************************************/
/* Local Read Addresses                   */
/******************************************/


/* local read addresses: tile assignments a/b */

/*lr0I*/
v_and_b32 v1, 63, v[vgprSerial]                    // 0. thread id in wave: wtid = tid % wavelength(64)
v_and_b32 v0, 3, v1                                // 1. N offset: nIdx = wtid % MI_N(4)
v_lshlrev_b32 v0, 0x5, v0                          // 1. N offset: nOffset = nIdx * nStride(32)
v_lshrrev_b32 v2, 2, v1                            // 2. block offset: bnIdx = wtid / dividedForBlkId(4)
v_and_b32 v2, 1, v2                                // 2. block offset: bnIdx = bnIdx % num1DBlocks(2)
v_lshlrev_b32 v2, 0x7, v2                          // 2. block offset: bnOffset = bnIdx * strideBlock(128)
_v_add_u32 v0, v2, v0                              // 3. add N and block offset: bnOffset = block and N offset
                                                   // 4. apply VectorWidth: bnOffset = bnOffset * vw(1) (multiplier is 1, do nothing)
v_lshrrev_b32 v1, 4, v1                            // 5. K offset: kIdx = wtid / (MIN(4) * MIBB(4))
                                                   // 5. K offset: lrKOffset = kIdx * mStride(1) (multiplier is 1, do nothing)
_v_add_u32 v0, v1, v0                              // 6. offset in wave: lrOffset = bnOffset + lrKOffset
/*lr1J*/
v_and_b32 v2, 63, v[vgprSerial]                    // 0. thread id in wave: wtid = tid % wavelength(64)
v_and_b32 v1, 3, v2                                // 1. N offset: nIdx = wtid % MI_N(4)
v_lshlrev_b32 v1, 0x5, v1                          // 1. N offset: nOffset = nIdx * nStride(32)
v_lshrrev_b32 v3, 3, v2                            // 2. block offset: bnIdx = wtid / dividedForBlkId(8)
v_and_b32 v3, 1, v3                                // 2. block offset: bnIdx = bnIdx % num1DBlocks(2)
v_lshlrev_b32 v3, 0x7, v3                          // 2. block offset: bnOffset = bnIdx * strideBlock(128)
_v_add_u32 v1, v3, v1                              // 3. add N and block offset: bnOffset = block and N offset
                                                   // 4. apply VectorWidth: bnOffset = bnOffset * vw(1) (multiplier is 1, do nothing)
v_lshrrev_b32 v2, 4, v2                            // 5. K offset: kIdx = wtid / (MIN(4) * MIBB(4))
                                                   // 5. K offset: lrKOffset = kIdx * mStride(1) (multiplier is 1, do nothing)
_v_add_u32 v1, v2, v1                              // 6. offset in wave: lrOffset = bnOffset + lrKOffset


/* local read addresses: final offsets a */

v_lshlrev_b32 v[vgprLocalReadAddrA], 0x4, v0       // Final Offset: offset = (lro0)*bpe
v_lshrrev_b32 v0, 9, v[vgprLocalReadAddrA]         // Final Offset: padding 1 per block 512
v_lshlrev_b32 v0, 0x4, v0                          // Final Offset: padding 1 per block 512
_v_add_u32 v[vgprLocalReadAddrA], v0, v[vgprLocalReadAddrA] // Final Offset: add padding 1 per block 512


/* local read addresses: final offsets b */

v_lshlrev_b32 v[vgprLocalReadAddrB], 0x4, v1       // Final Offset: offset = (lro1)*bpe
v_lshrrev_b32 v0, 9, v[vgprLocalReadAddrB]         // Final Offset: padding 1 per block 512
v_lshlrev_b32 v0, 0x4, v0                          // Final Offset: padding 1 per block 512
_v_add_u32 v[vgprLocalReadAddrB], v0, v[vgprLocalReadAddrB] // Final Offset: add padding 1 per block 512


/* local read addresses: declare addresses a */

/* N/A */


/* local read addresses: declare addresses b */

_v_add_co_u32 v[vgprLocalReadAddrB+0], vcc, 0x1100, v[vgprLocalReadAddrB+0] //  += LdsOffsetB (lower)


/* global read addresses: tile offset assignment a */

/* LVCA = 32 */
/* v0 = (local)groA-tile = serial/LVCA (note (wgA*MTA) will be added to SRD) */
/* v1 = groA-unroll = serial%LVCA */
v_lshrrev_b32 v0, 5, v[vgprSerial]                 // v0 = v[vgprSerial] / 32
v_and_b32 v1, 31, v[vgprSerial]                    // v1 = v[vgprSerial] % 32
/* gro-unroll *= glvw */
                                                   // v1 = v1 * 1 (multiplier is 1, do nothing)
v_mov_b32 v2, v1                                   // copy for GlobalSplitU


/* global read addresses: tile offset assignment b */

/* LVCB = 32 */
/* v3 = (local)groB-tile = serial/LVCB (note (wgB*MTB) will be added to SRD) */
/* v4 = groB-unroll = serial%LVCB */
v_lshrrev_b32 v3, 5, v[vgprSerial]                 // v3 = v[vgprSerial] / 32
v_and_b32 v4, 31, v[vgprSerial]                    // v4 = v[vgprSerial] % 32
/* gro-unroll *= glvw */
                                                   // v4 = v4 * 1 (multiplier is 1, do nothing)
v_mov_b32 v5, v4                                   // copy for GlobalSplitU


/******************************************/
/* Local Write Addresses                  */
/******************************************/

/* lwaTileAssignmentA = v0 */

/* lwaTileAssignmentB = v3 */

/* lwaUnrollAssignmentA = v2 */

/* lwaUnrollAssignmentB = v5 */


/* local write addresses: first offset a */

v_mul_u32_u24 v[vgprLocalWriteAddrA], 0x20, v0     // lwAL**(DepthU_Compute + PAD)
_v_add_lshl_u32 v[vgprLocalWriteAddrA], v2, v[vgprLocalWriteAddrA], 0x4 // lwFOA = (lwAA + lwAL*(DepthU+PAD))*bpe
v_lshrrev_b32 v6, 9, v[vgprLocalWriteAddrA]        // padding 1 per block 512
v_lshlrev_b32 v6, 0x4, v6                          // padding 1 per block 512
_v_add_u32 v[vgprLocalWriteAddrA], v6, v[vgprLocalWriteAddrA] // add padding 1 per block 512


/* local write addresses: first offset b */

v_mul_u32_u24 v[vgprLocalWriteAddrB], 0x20, v3     // lwBL**(DepthU_Compute + PAD)
_v_add_lshl_u32 v[vgprLocalWriteAddrB], v5, v[vgprLocalWriteAddrB], 0x4 // lwFOB = (lwBB + lwBL*(DepthU+PAD))*bpe
v_lshrrev_b32 v6, 9, v[vgprLocalWriteAddrB]        // padding 1 per block 512
v_lshlrev_b32 v6, 0x4, v6                          // padding 1 per block 512
_v_add_u32 v[vgprLocalWriteAddrB], v6, v[vgprLocalWriteAddrB] // add padding 1 per block 512
_v_add_co_u32 v[vgprLocalWriteAddrB], vcc, 0x1100, v[vgprLocalWriteAddrB] // lwFOB = lwB1J + lwBL*MT1J + LDS_OFFSET_B=272*16


	;; [unrolled: 1-line block ×7, first 2 shown]
s_waitcnt lgkmcnt(0)                               // wait for 148 bytes of kern args
s_mov_b64 s[sgprSrdC+0:sgprSrdC+0+1], s[sgprAddressC+0:sgprAddressC+0+1] // copy addressC
s_mov_b64 s[sgprSrdD+0:sgprSrdD+0+1], s[sgprAddressD+0:sgprAddressD+0+1] // copy addressD
s_sub_u32 s[sgprSrdA+0], s[sgprAddressA+0], 16     // pre-pad to make room for possible pointer shift
s_subb_u32 s[sgprSrdA+1], s[sgprAddressA+1], 0     // pre-pad to make room for possible pointer shift
s_sub_u32 s[sgprSrdB+0], s[sgprAddressB+0], 16     // pre-pad to make room for possible pointer shift
s_subb_u32 s[sgprSrdB+1], s[sgprAddressB+1], 0     // pre-pad to make room for possible pointer shift

.set AddressD, UNDEF
.set AddressC, UNDEF
.set AddressA, UNDEF
.set AddressB, UNDEF

/* Short circuit condition if Alpha == 0, then sumDims=0 */
v_cmp_eq_f64 vcc, s[sgprAlpha:sgprAlpha+1], 0.0    // Alpha.real == 0.0 ?
s_cbranch_vccz label_AlphaNonZero                  // branch if Alpha.real != 0
v_cmp_eq_f64 vcc, s[sgprAlpha+2:sgprAlpha+2+1], 0.0 // Alpha.imag == 0.0 ?
s_cbranch_vccz label_AlphaNonZero                  // branch if Alpha.imag != 0
s_mov_b32 s[sgprSizesSum+0], 0x0                   // Set summation dim=0 if Alpha == 0
label_AlphaNonZero:


	;; [unrolled: 1-line block ×3, first 2 shown]
/******************************************/
/* Begin setupNewTile, isPap=False           */
/******************************************/


/* global read addresses: work-group */

/* graWorkGroup mapping */
// GSU-not-WGMapRR :nwg1 = (size1J + MT1J - 1) / MT1J;
s_mov_b32 s70, s[sgprWorkGroup1]                   // copying for divisor
s_mov_b32 s69, 0x0                                 // STATIC_DIV: divisior=17
s_mul_i32 s68, 0x1e1e, s70                         // tmp1 = dividend * magic hi
s_lshl_b64 s[68:69], s[68:69], 0x10                // left shift 16 bits
s_mul_i32 s[sgprWorkGroup1], s70, 0x1e1f           // tmp0 = dividend * magic lo
s_add_u32 s68, s[sgprWorkGroup1], s68              // add lo
s_addc_u32 s69, s69, 0x0                           // add hi
s_lshr_b64 s[68:69], s[68:69], 0x21                // tmp1 = (dividend * magic) << shift
s_mov_b32 s[sgprWorkGroup1], s68                   // quotient
s_mul_i32 s68, s[sgprWorkGroup1], 0x11             // quotient*divisor
s_sub_u32 s[sgprGSUSumIdx], s70, s68               // rReg = dividend - quotient*divisor
s_mov_b32 s71, 0x10000001L                         // magic number for WGM==8
s_mul_hi_u32 s69, s[sgprWorkGroup1], s71           // s_magic mul
s_mul_i32 s68, s[sgprWorkGroup1], s71              // s_magic mul
s_lshr_b64 s[68:69], s[68:69], 31                  // sMagicDiv
s_mul_i32 s69, s68, 8                              // quotient * non-magic divisor
s_sub_u32 s69, s[sgprWorkGroup1], s69              // WorkGroup1=remainder
s_mul_i32 s69, s69, s[sgprNumWorkGroups0]          // (wg1 % WGM)*nwg0
s_add_u32 s69, s69, s[sgprWorkGroup0]              // wgSerial = wg0 + (wg1 % WGM)*nwg1
s_cmp_ge_u32 s68, s[sgprNumFullBlocks]             // blockId >= numFullBlocks ?
s_cmov_b32 s71, s[sgprMagicNumberWgmRemainder1]    // 
s_cselect_b32 s70, s[sgprWgmRemainder1], 8         // 
s_mul_hi_u32 s3, s69, s71                          // s_magic mul
s_mul_i32 s2, s69, s71                             // s_magic mul
s_lshr_b64 s[2:3], s[2:3], 31                      // sMagicDiv
s_mul_i32 s[sgprWorkGroup1], s[sgprWorkGroup0], s70 // quotient * non-magic divisor
s_sub_u32 s[sgprWorkGroup1], s69, s[sgprWorkGroup1] // WorkGroup1=remainder
s_mul_i32 s68, s68, 8                              // blockId * WGM
s_add_u32 s[sgprWorkGroup1], s[sgprWorkGroup1], s68 // wg1 += blockId * WGM


/* global read addresses: unroll assignment a */

/* v1 */


/* global read addresses: unroll assignment b */

/* v4 */


/* global read addresses: other free assignments */

/* s[sgprWorkGroup2] */


/* global read addresses: tile offsets a */


	;; [unrolled: 1-line block ×3, first 2 shown]
/* global read addresses: tile offsets b */


	;; [unrolled: 1-line block ×3, first 2 shown]
/* global read addresses: unroll offsets a */


	;; [unrolled: 1-line block ×3, first 2 shown]
/* global read addresses: unroll offsets b */


	;; [unrolled: 1-line block ×3, first 2 shown]
/* global read addresses: final offsets a */

GLOBAL_OFFSET_A vgprGlobalReadOffsetA+0,  1,  0, 6 // gROA_0_0_0_0
s_mul_i32 s[sgprScalarGlobalReadOffsetA+0], s[sgprStrideA0I], 2 // compute offset diff (scaled tileDim)
s_lshl_b32 s[sgprScalarGlobalReadOffsetA+0], s[sgprScalarGlobalReadOffsetA+0], 0x4 // scalar offset *= bytes/element
s_mul_i32 s[sgprScalarGlobalReadOffsetA+1], s[sgprStrideA0I], 4 // compute offset diff (scaled tileDim)
s_lshl_b32 s[sgprScalarGlobalReadOffsetA+1], s[sgprScalarGlobalReadOffsetA+1], 0x4 // scalar offset *= bytes/element
	;; [unrolled: 2-line block ×3, first 2 shown]


/* global read addresses: final offsets b */

GLOBAL_OFFSET_B vgprGlobalReadOffsetB+0,  4,  3, 6 // gROB_0_0_0_0
s_mul_i32 s[sgprScalarGlobalReadOffsetB+0], s[sgprStrideB1J], 2 // compute offset diff (scaled tileDim)
s_lshl_b32 s[sgprScalarGlobalReadOffsetB+0], s[sgprScalarGlobalReadOffsetB+0], 0x4 // scalar offset *= bytes/element
s_mul_i32 s[sgprScalarGlobalReadOffsetB+1], s[sgprStrideB1J], 4 // compute offset diff (scaled tileDim)
s_lshl_b32 s[sgprScalarGlobalReadOffsetB+1], s[sgprScalarGlobalReadOffsetB+1], 0x4 // scalar offset *= bytes/element
	;; [unrolled: 2-line block ×3, first 2 shown]


/* global read addresses: addresses a */

/* max read offset = size[n] * stride[n-1] */
s_mul_hi_u32 s69, s[sgprWorkGroup0], 8             // WorkGroup[01] * MT
s_mul_i32 s68, s[sgprWorkGroup0], 8                // WorkGroup[01] * MT
s_mul_hi_u32 s69, s68, s[sgprStrideA0I]            // tlu=0, scaled tile-offset by stride
s_mul_i32 s68, s68, s[sgprStrideA0I]               // tlu=0, scaled tile-offset by stride
s_mul_hi_u32 s39, 32, s[sgprGSUSumIdx]             // gsuOffset = DepthU*bpe*GSUSumIdx
s_mul_i32 s38, 32, s[sgprGSUSumIdx]                // gsuOffset = DepthU*bpe*GSUSumIdx
s_add_u32 s68, s68, s38                            // accum GsuOffset term to tilestart
s_addc_u32 s69, s69, s39                           // accum GsuOffset term to tilestart
s_sub_u32 s[sgprShadowLimitA+0], s[sgprTensor2dSizeA], s68 // sub tileStart
s_subb_u32 s[sgprShadowLimitA+1], s[sgprTensor2dSizeA+1], s69 // sub tileStart
s_lshl_b64 s[sgprShadowLimitA:sgprShadowLimitA+1], s[sgprShadowLimitA:sgprShadowLimitA+1], 0x4 // Set limit to use bytes
s_add_u32 s[sgprShadowLimitA+0], s[sgprShadowLimitA+0], 16 // extend limit for pre-pad
s_addc_u32 s[sgprShadowLimitA+1], s[sgprShadowLimitA+1], 0 // extend limit for pre-pad
s_cmp_eq_u32 s[sgprShadowLimitA+1], 0              // are we within 2^32?
s_cselect_b32 s[sgprSrdA+2], s[sgprShadowLimitA+0], BufferLimitA // Move shadow to real if we are within 2^32
s_mul_hi_u32 s39, s[sgprStrideAK], s[sgprWorkGroup2] // Stride*WG
s_mul_i32 s38, s[sgprStrideAK], s[sgprWorkGroup2]  // Stride*WG
s_add_u32 s68, s68, s38                            // accum wg term to tilestart
s_addc_u32 s69, s69, s39                           // accum wg term to tilestart
s_lshl_b64 s[68:69], s[68:69], 0x4                 // tileStart *= BPE
s_add_u32 s[sgprSrdA+0], s[sgprSrdA+0], s68        // SRD base = Address+ tileStart0
s_addc_u32 s[sgprSrdA+1], s[sgprSrdA+1], s69       // SRD base = Address+ tileStart1
s_mov_b32 s[sgprSrdA+3], Srd127_96                 // Set bits 127_96 in SRD


/* global read addresses: addresses b */

/* max read offset = size[n] * stride[n-1] */
s_mul_hi_u32 s69, s[sgprWorkGroup1], 8             // WorkGroup[01] * MT
s_mul_i32 s68, s[sgprWorkGroup1], 8                // WorkGroup[01] * MT
s_mul_hi_u32 s69, s68, s[sgprStrideB1J]            // tlu=0, scaled tile-offset by stride
s_mul_i32 s68, s68, s[sgprStrideB1J]               // tlu=0, scaled tile-offset by stride
s_mul_hi_u32 s39, 32, s[sgprGSUSumIdx]             // gsuOffset = DepthU*bpe*GSUSumIdx
s_mul_i32 s38, 32, s[sgprGSUSumIdx]                // gsuOffset = DepthU*bpe*GSUSumIdx
s_add_u32 s68, s68, s38                            // accum GsuOffset term to tilestart
s_addc_u32 s69, s69, s39                           // accum GsuOffset term to tilestart
s_sub_u32 s[sgprShadowLimitB+0], s[sgprTensor2dSizeB], s68 // sub tileStart
s_subb_u32 s[sgprShadowLimitB+1], s[sgprTensor2dSizeB+1], s69 // sub tileStart
s_lshl_b64 s[sgprShadowLimitB:sgprShadowLimitB+1], s[sgprShadowLimitB:sgprShadowLimitB+1], 0x4 // Set limit to use bytes
s_add_u32 s[sgprShadowLimitB+0], s[sgprShadowLimitB+0], 16 // extend limit for pre-pad
s_addc_u32 s[sgprShadowLimitB+1], s[sgprShadowLimitB+1], 0 // extend limit for pre-pad
s_cmp_eq_u32 s[sgprShadowLimitB+1], 0              // are we within 2^32?
s_cselect_b32 s[sgprSrdB+2], s[sgprShadowLimitB+0], BufferLimitB // Move shadow to real if we are within 2^32
s_mul_hi_u32 s39, s[sgprStrideBK], s[sgprWorkGroup2] // Stride*WG
s_mul_i32 s38, s[sgprStrideBK], s[sgprWorkGroup2]  // Stride*WG
s_add_u32 s68, s68, s38                            // accum wg term to tilestart
s_addc_u32 s69, s69, s39                           // accum wg term to tilestart
s_lshl_b64 s[68:69], s[68:69], 0x4                 // tileStart *= BPE
s_add_u32 s[sgprSrdB+0], s[sgprSrdB+0], s68        // SRD base = Address+ tileStart0
s_addc_u32 s[sgprSrdB+1], s[sgprSrdB+1], s69       // SRD base = Address+ tileStart1
s_mov_b32 s[sgprSrdB+3], Srd127_96                 // Set bits 127_96 in SRD


/* global read addresses: increments a */

s_mov_b32 s[sgprGlobalReadIncsA+0], DepthU*BpeA*17 // incrA (unrollIdx)


/* global read addresses: increments b */

s_mov_b32 s[sgprGlobalReadIncsB+0], DepthU*BpeB*17 // incrB (unrollIdx)

/* declare loop num iterations */


s_lshr_b32 s[sgprLoopCounterL], s[sgprSizesSum+0], 5 // s[sgprLoopCounterL] = s[sgprSizesSum+0] / 32
v_mov_b32 v2, s[sgprLoopCounterL]                  // copy for divide IterGsu
s_mov_b32 s68, 0x1e1e1e1f                          // v0 = v2 / 17
v_mul_hi_u32 v0, v2, s68                           // v0 = v2 / 17
v_lshrrev_b32 v0, 0x1, v0                          // v0 = v2 / 17
s_mov_b32 s68, 0x11                                // v1 = v2 % 17
v_mul_lo_u32 v1, v0, s68                           // v1 = v2 % 17
_v_sub_u32 v1, v2, v1                              // v1 = v2 % 17
v_readfirstlane_b32 s[sgprLoopCounterL], v0        // 
v_readfirstlane_b32 s[sgprGSUSumIdx+1], v1         // 
s_add_u32 s68, 1, s[sgprLoopCounterL]              // tmp<-numIterMyWg+
s_cmp_lt_u32 s[sgprGSUSumIdx], s[sgprGSUSumIdx+1]  // gsuSumIdx < numIterPerWgRemainder
s_cmov_b32 s[sgprLoopCounterL], s68                // numIterMyWg++ if needed
s_mov_b32 s[sgprOrigLoopCounter], s[sgprLoopCounterL] // copy loop counter

/* local read addresses: init pointers a */


/* localReadInitPointers */

/* local read addresses: init pointers b */


/* localReadInitPointers */


/* prefetch: global -> local */

s_cmp_eq_u32 s[sgprLoopCounterL], 0                // at last iteration?
s_cbranch_scc1 ShadowInitStart_10                  // skip to ShadowInitStart iter b/c numIter==0


_buffer_load_b128 v[vgprG2LA+0:vgprG2LA+0+3], v[vgprGlobalReadOffsetA+0], s[sgprSrdA:sgprSrdA+3], 0, offen offset:0 // G -> Reg 0_0_0_0
_buffer_load_b128 v[vgprG2LA+4:vgprG2LA+4+3], v[vgprGlobalReadOffsetA+0], s[sgprSrdA:sgprSrdA+3], s[sgprScalarGlobalReadOffsetA+0], offen offset:0 // G -> Reg 0_0_1_0
_buffer_load_b128 v[vgprG2LA+8:vgprG2LA+8+3], v[vgprGlobalReadOffsetA+0], s[sgprSrdA:sgprSrdA+3], s[sgprScalarGlobalReadOffsetA+1], offen offset:0 // G -> Reg 0_0_2_0
_buffer_load_b128 v[vgprG2LA+12:vgprG2LA+12+3], v[vgprGlobalReadOffsetA+0], s[sgprSrdA:sgprSrdA+3], s[sgprScalarGlobalReadOffsetA+2], offen offset:0 // G -> Reg 0_0_3_0


_buffer_load_b128 v[vgprG2LB+0:vgprG2LB+0+3], v[vgprGlobalReadOffsetB+0], s[sgprSrdB:sgprSrdB+3], 0, offen offset:0 // G -> Reg 0_0_0_0
_buffer_load_b128 v[vgprG2LB+4:vgprG2LB+4+3], v[vgprGlobalReadOffsetB+0], s[sgprSrdB:sgprSrdB+3], s[sgprScalarGlobalReadOffsetB+0], offen offset:0 // G -> Reg 0_0_1_0
_buffer_load_b128 v[vgprG2LB+8:vgprG2LB+8+3], v[vgprGlobalReadOffsetB+0], s[sgprSrdB:sgprSrdB+3], s[sgprScalarGlobalReadOffsetB+1], offen offset:0 // G -> Reg 0_0_2_0
_buffer_load_b128 v[vgprG2LB+12:vgprG2LB+12+3], v[vgprGlobalReadOffsetB+0], s[sgprSrdB:sgprSrdB+3], s[sgprScalarGlobalReadOffsetB+2], offen offset:0 // G -> Reg 0_0_3_0


/* global read inc A loopL */
s_add_u32 s[sgprSrdA+0], s[sgprSrdA+0], s[sgprGlobalReadIncsA+0] // gra SRD += inc(lower)
s_addc_u32  s[sgprSrdA+1], s[sgprSrdA+1], 0        // gra SRD += inc(upper)
s_sub_u32 s[sgprShadowLimitA+0], s[sgprShadowLimitA+0], s[sgprGlobalReadIncsA+0] // limit -= inc)
s_subb_u32 s[sgprShadowLimitA+1], s[sgprShadowLimitA+1], 0 // limit -= inc)
s_cmp_eq_u32 s[sgprShadowLimitA+1], 0              // are we within 2^32?
s_cmov_b32 s[sgprSrdA+2], s[sgprShadowLimitA+0]    // Move shadow to real if we are within 2^32

/* global read inc B loopL */
s_add_u32 s[sgprSrdB+0], s[sgprSrdB+0], s[sgprGlobalReadIncsB+0] // gra SRD += inc(lower)
s_addc_u32  s[sgprSrdB+1], s[sgprSrdB+1], 0        // gra SRD += inc(upper)
s_sub_u32 s[sgprShadowLimitB+0], s[sgprShadowLimitB+0], s[sgprGlobalReadIncsB+0] // limit -= inc)
s_subb_u32 s[sgprShadowLimitB+1], s[sgprShadowLimitB+1], 0 // limit -= inc)
s_cmp_eq_u32 s[sgprShadowLimitB+1], 0              // are we within 2^32?
s_cmov_b32 s[sgprSrdB+2], s[sgprShadowLimitB+0]    // Move shadow to real if we are within 2^32


/******************************************/
/* End setupNewTile, isPap=False             */
/******************************************/

ShadowInitStart_10: // 

s_mov_b32 s[sgprSrdD+2], BufferOOB                 // 
s_mov_b32 s[sgprSrdD+3], Srd127_96                 // Set bits 127_96 in post-loop SRD

s_mov_b32 s[sgprSrdC+2], BufferOOB                 // 
s_mov_b32 s[sgprSrdC+3], Srd127_96                 // Set bits 127_96 in post-loop SRD


s_mul_i32 s70, MT1, s[sgprWorkGroup1]              // <- wg1*MT1
s_mul_hi_u32 s69, s70, s[sgprStrideC1J]            // CScale s70 by Stride
s_mul_i32 s68, s70, s[sgprStrideC1J]               // CScale s70 by Stride
s_lshl_b64 s[68:69], s[68:69], 4                   // scale by bpe
s_add_u32 s[sgprSrdC+0], s[sgprSrdC+0], s68        // add lo to SRD
s_addc_u32 s[sgprSrdC+1], s[sgprSrdC+1], s69       // add hi to SRD
s_mul_hi_u32 s69, s70, s[sgprStrideD1J]            // Scale s70 by Stride
s_mul_i32 s68, s70, s[sgprStrideD1J]               // Scale s70 by Stride
s_lshl_b64 s[68:69], s[68:69], 4                   // scale by bpe
s_add_u32 s[sgprSrdD+0], s[sgprSrdD+0], s68        // add lo to SRD
s_addc_u32 s[sgprSrdD+1], s[sgprSrdD+1], s69       // add hi to SRD

s_mul_hi_u32 s69, s[sgprWorkGroup2], s[sgprStrideCK] // CScale s[sgprWorkGroup2] by Stride
s_mul_i32 s68, s[sgprWorkGroup2], s[sgprStrideCK]  // CScale s[sgprWorkGroup2] by Stride
s_lshl_b64 s[68:69], s[68:69], 4                   // scale by bpe
s_add_u32 s[sgprSrdC+0], s[sgprSrdC+0], s68        // add lo to SRD
s_addc_u32 s[sgprSrdC+1], s[sgprSrdC+1], s69       // add hi to SRD
s_mul_hi_u32 s69, s[sgprWorkGroup2], s[sgprStrideDK] // Scale s[sgprWorkGroup2] by Stride
s_mul_i32 s68, s[sgprWorkGroup2], s[sgprStrideDK]  // Scale s[sgprWorkGroup2] by Stride
s_lshl_b64 s[68:69], s[68:69], 4                   // scale by bpe
s_add_u32 s[sgprSrdD+0], s[sgprSrdD+0], s68        // add lo to SRD
s_addc_u32 s[sgprSrdD+1], s[sgprSrdD+1], s69       // add hi to SRD

// GSU Output Buffer offset: Free0 + (Free1-1)*StrideC1J + (Free2-1)*StrideCK * GSUIdx * bpe
s_mul_hi_u32 s11, s[sgprSizesFree+0], s[sgprGSUSumIdx] // Free0
s_mul_i32 s10, s[sgprSizesFree+0], s[sgprGSUSumIdx] // Free0
s_sub_u32 s71, s[sgprSizesFree+1], 1               // Free1
s_mul_i32 s71, s71, s[sgprGSUSumIdx]               // Free1
s_mul_hi_u32 s39, s71, s[sgprStrideC1J]            // Free1
s_mul_i32 s38, s71, s[sgprStrideC1J]               // Free1
s_add_u32 s10, s10, s38                            // Free1
s_addc_u32 s11, s11, s39                           // Free1
s_sub_u32 s71, s[sgprSizesFree+2], 1               // Free2
s_mul_i32 s71, s71, s[sgprGSUSumIdx]               // Free2
s_mul_hi_u32 s39, s71, s[sgprStrideCK]             // Free2
s_mul_i32 s38, s71, s[sgprStrideCK]                // Free2
s_add_u32 s10, s10, s38                            // Free2
s_addc_u32 s11, s11, s39                           // Free2
s_lshl_b64 s[10:11], s[10:11], 4                   // scale by bpe
s_add_u32 s[sgprSrdD+0], s[sgprSrdD+0], s10        // add lo GSU offset to SRD
s_addc_u32 s[sgprSrdD+1], s[sgprSrdD+1], s11       // add hi GSU offset to SRD


/* initC: remove C-tile 0-4 from pool */

/* initC: remove AB-tile 4-68 from pool */
v_mov_b32 v[vgprValuC+0], 0x0                      // initC
v_mov_b32 v[vgprValuC+1], 0x0                      // initC
	;; [unrolled: 1-line block ×4, first 2 shown]

s_cmp_eq_u32 s[sgprLoopCounterL], 0                // at last iteration?

/* after InitC, skip to end of prefetch last iter if numIter==0 */
s_cbranch_scc0 label_NoBranch_11                   // Only branch on scc1
s_getpc_B64 s[68:69]                               // addr of next instr
s_add_i32 s70, PrefetchGlobalLastIterEnd_5, 0x4    // target branch offset
s_add_u32 s68, s68, s70                            // add target branch offset
s_addc_u32 s69, s69, 0                             // add high and carry
s_setpc_b64 s[68:69]                               // branch to PrefetchGlobalLastIterEnd_5
label_NoBranch_11:

s_waitcnt vmcnt(0)                                 // lgkmcnt=-1 vmcnt=0 8wait for global read


/* local write a */
_ds_store_b128 v[vgprLocalWriteAddrA], v[vgprG2LA+0:vgprG2LA+0+3] offset:0 // lwoA_0_0_0_0 = (0*LSCA)*(MT0I+PAD) + (0*LSPA) = 0
_ds_store_b128 v[vgprLocalWriteAddrA], v[vgprG2LA+4:vgprG2LA+4+3] offset:1056 // lwoA_0_0_1_0 = (0*LSCA)*(MT0I+PAD) + (1*LSPA) = 1056
_ds_store_b128 v[vgprLocalWriteAddrA], v[vgprG2LA+8:vgprG2LA+8+3] offset:2112 // lwoA_0_0_2_0 = (0*LSCA)*(MT0I+PAD) + (2*LSPA) = 2112
_ds_store_b128 v[vgprLocalWriteAddrA], v[vgprG2LA+12:vgprG2LA+12+3] offset:3168 // lwoA_0_0_3_0 = (0*LSCA)*(MT0I+PAD) + (3*LSPA) = 3168

/* local write b */
_ds_store_b128 v[vgprLocalWriteAddrB], v[vgprG2LB+0:vgprG2LB+0+3] offset:0 // lwoB_0_0_0_0 = (0*LSCB)*(MT1J+PAD) + (0*LSPB) = 0
_ds_store_b128 v[vgprLocalWriteAddrB], v[vgprG2LB+4:vgprG2LB+4+3] offset:1056 // lwoB_0_0_1_0 = (0*LSCB)*(MT1J+PAD) + (1*LSPB) = 1056
_ds_store_b128 v[vgprLocalWriteAddrB], v[vgprG2LB+8:vgprG2LB+8+3] offset:2112 // lwoB_0_0_2_0 = (0*LSCB)*(MT1J+PAD) + (2*LSPB) = 2112
_ds_store_b128 v[vgprLocalWriteAddrB], v[vgprG2LB+12:vgprG2LB+12+3] offset:3168 // lwoB_0_0_3_0 = (0*LSCB)*(MT1J+PAD) + (3*LSPB) = 3168


/* local write swap a */


/* (EPS=1) local write swap internal offset -> 16384 */


/* local write swap b */


/* (EPS=1) local write swap internal offset -> 16384 */


	;; [unrolled: 1-line block ×3, first 2 shown]
s_cmp_eq_u32 s[sgprLoopCounterL] 0x1               // PGR=2 but only 1 loop
s_cbranch_scc1 label_0012                          // PGR=2 but only 1 loop


_buffer_load_b128 v[vgprG2LA+0:vgprG2LA+0+3], v[vgprGlobalReadOffsetA+0], s[sgprSrdA:sgprSrdA+3], 0, offen offset:0 // G -> Reg 0_0_0_0
_buffer_load_b128 v[vgprG2LA+4:vgprG2LA+4+3], v[vgprGlobalReadOffsetA+0], s[sgprSrdA:sgprSrdA+3], s[sgprScalarGlobalReadOffsetA+0], offen offset:0 // G -> Reg 0_0_1_0
_buffer_load_b128 v[vgprG2LA+8:vgprG2LA+8+3], v[vgprGlobalReadOffsetA+0], s[sgprSrdA:sgprSrdA+3], s[sgprScalarGlobalReadOffsetA+1], offen offset:0 // G -> Reg 0_0_2_0
_buffer_load_b128 v[vgprG2LA+12:vgprG2LA+12+3], v[vgprGlobalReadOffsetA+0], s[sgprSrdA:sgprSrdA+3], s[sgprScalarGlobalReadOffsetA+2], offen offset:0 // G -> Reg 0_0_3_0


_buffer_load_b128 v[vgprG2LB+0:vgprG2LB+0+3], v[vgprGlobalReadOffsetB+0], s[sgprSrdB:sgprSrdB+3], 0, offen offset:0 // G -> Reg 0_0_0_0
_buffer_load_b128 v[vgprG2LB+4:vgprG2LB+4+3], v[vgprGlobalReadOffsetB+0], s[sgprSrdB:sgprSrdB+3], s[sgprScalarGlobalReadOffsetB+0], offen offset:0 // G -> Reg 0_0_1_0
_buffer_load_b128 v[vgprG2LB+8:vgprG2LB+8+3], v[vgprGlobalReadOffsetB+0], s[sgprSrdB:sgprSrdB+3], s[sgprScalarGlobalReadOffsetB+1], offen offset:0 // G -> Reg 0_0_2_0
_buffer_load_b128 v[vgprG2LB+12:vgprG2LB+12+3], v[vgprGlobalReadOffsetB+0], s[sgprSrdB:sgprSrdB+3], s[sgprScalarGlobalReadOffsetB+2], offen offset:0 // G -> Reg 0_0_3_0

label_0012:                                        // 

s_waitcnt lgkmcnt(0)                               // lgkmcnt=0 vmcnt=-10prefetch wait for local write

// Skip barrier: NumThreads=64


/* local read prefetch a */

_ds_load_b128 v[vgprValuA_X0_I0+0:vgprValuA_X0_I0+0+3], v[vgprLocalReadAddrA] offset:0 // L -> Reg lro=0 swapByteOffset=0 ti=8 vIdx=0 rIdx=0 oIdx=0 buffer=0 iui=0


/* local read prefetch b */

_ds_load_b128 v[vgprValuB_X0_I0+0:vgprValuB_X0_I0+0+3], v[vgprLocalReadAddrB] offset:0 // L -> Reg lro=0 swapByteOffset=0 ti=8 vIdx=0 rIdx=0 oIdx=0 buffer=0 iui=0


/* local read inc a */

/* N/A, lro->4 */
/* self.localReadDoCntA 1 self.localReadDoCntB 1 */


/* local read inc b */

/* N/A, lro->4 */
/* self.localReadDoCntA 1 self.localReadDoCntB 1 */


	;; [unrolled: 1-line block ×3, first 2 shown]
/******************************************/
/* Unrolled Loop(s) - Begin               */
/******************************************/

openLoopL_13:
s_cmp_eq_u32 s[sgprLoopCounterL], 0x1              // LoopCounterL < EndCounter
s_cbranch_scc1 label_0014                          // PGR=2 but only 1 loop, toPGR1
s_cmp_le_u32 s[sgprLoopCounterL], 0x2              // LoopCounterL < EndCounter
s_cbranch_scc1 LoopEndL_evenexit_4                 // do not enter LoopL
LoopBeginL_1:


/******************************************/
/* Unrolled Loop 1/2 - Begin              */
/******************************************/

label_0015: // LoopCopy1 


/* Begin Each Unroll: Check VGPR.checkin for INT8 LW */


	;; [unrolled: 1-line block ×3, first 2 shown]
/* iter 0 */

/*  grEndMfmaIndex:12, lwStartMfmaIndex:14, lwEndMfmaIndex:23  */
/*  numMfmaForLR:3, barrierMfmaIndex:28, LocalWritePerMfma:0.800 */
/*  mfmaIndex:0  */
s_waitcnt lgkmcnt(0)                               // lgkmcnt=0 vmcnt=-1wait for prior local read local write old=0, new=0 newLW=0 newLR=0
v_add_f64 v[108:109], -v[vgprValuA_X0_I0+0+0+0+2:vgprValuA_X0_I0+0+0+0+2+1], 0 // Ai=-Ai
v_mfma_f64_4x4x4f64 v[0+0:1+0], v[vgprValuB_X0_I0+0+0+0:vgprValuB_X0_I0+0+0+0+1], v[vgprValuA_X0_I0+0+0+0:vgprValuA_X0_I0+0+0+0+1], v[0:1]
 // Cr += Ar*Br
/*  mfmaIndex:1  */
_ds_load_b128 v[vgprValuA_X1_I0+0:vgprValuA_X1_I0+0+3], v[vgprLocalReadAddrA] offset:64 // L -> Reg lro=4 swapByteOffset=0 ti=8 vIdx=0 rIdx=0 oIdx=0 buffer=1 iui=0

/* global read inc A loopL */
s_add_u32 s[sgprSrdA+0], s[sgprSrdA+0], s[sgprGlobalReadIncsA+0] // gra SRD += inc(lower)
v_mfma_f64_4x4x4f64 v[2+0:3+0], v[vgprValuB_X0_I0+0+0+0:vgprValuB_X0_I0+0+0+0+1], v[108:109], v[2:3]
 // Ci += -Ai*Br
/*  mfmaIndex:2  */
_ds_load_b128 v[vgprValuB_X1_I0+0:vgprValuB_X1_I0+0+3], v[vgprLocalReadAddrB] offset:64 // L -> Reg lro=4 swapByteOffset=0 ti=8 vIdx=0 rIdx=0 oIdx=0 buffer=1 iui=0
s_addc_u32  s[sgprSrdA+1], s[sgprSrdA+1], 0        // gra SRD += inc(upper)
v_mfma_f64_4x4x4f64 v[0+0:1+0], v[vgprValuB_X0_I0+0+0+0+2:vgprValuB_X0_I0+0+0+0+2+1], v[vgprValuA_X0_I0+0+0+0+2:vgprValuA_X0_I0+0+0+0+2+1], v[0:1]
 // Cr += Ai*Bi
/*  mfmaIndex:3  */
/* localReadsVacancy: latencyLeft 1 */
_ds_load_b128 v[vgprValuA_X2_I0+0:vgprValuA_X2_I0+0+3], v[vgprLocalReadAddrA] offset:128 // L -> Reg lro=8 swapByteOffset=0 ti=8 vIdx=0 rIdx=0 oIdx=0 buffer=2 iui=0
s_sub_u32 s[sgprShadowLimitA+0], s[sgprShadowLimitA+0], s[sgprGlobalReadIncsA+0] // limit -= inc)
v_mfma_f64_4x4x4f64 v[2+0:3+0], v[vgprValuB_X0_I0+0+0+0+2:vgprValuB_X0_I0+0+0+0+2+1], v[vgprValuA_X0_I0+0+0+0:vgprValuA_X0_I0+0+0+0+1], v[2:3]
 // Ci += Ar*Bi
/* numPrefetchIter=0 */
/* dataAtIterA=-1 numReadsIterA=1 skipReadsIterA=1 readsPerIterA=1 */
/* dataAtIterB=-1 numReadsIterB=1 skipReadsIterB=1 readsPerIterB=1 */


/* iter 1 */

/*  grEndMfmaIndex:12, lwStartMfmaIndex:14, lwEndMfmaIndex:23  */
/*  numMfmaForLR:3, barrierMfmaIndex:28, LocalWritePerMfma:0.800 */
/*  mfmaIndex:4  */
_ds_load_b128 v[vgprValuB_X2_I0+0:vgprValuB_X2_I0+0+3], v[vgprLocalReadAddrB] offset:128 // L -> Reg lro=8 swapByteOffset=0 ti=8 vIdx=0 rIdx=0 oIdx=0 buffer=2 iui=0
s_subb_u32 s[sgprShadowLimitA+1], s[sgprShadowLimitA+1], 0 // limit -= inc)
s_waitcnt lgkmcnt(2)                               // lgkmcnt=0 vmcnt=-1wait for prior local read local write old=1, new=2 newLW=0 newLR=1
v_add_f64 v[108:109], -v[vgprValuA_X1_I0+0+0+0+2:vgprValuA_X1_I0+0+0+0+2+1], 0 // Ai=-Ai
v_mfma_f64_4x4x4f64 v[0+0:1+0], v[vgprValuB_X1_I0+0+0+0:vgprValuB_X1_I0+0+0+0+1], v[vgprValuA_X1_I0+0+0+0:vgprValuA_X1_I0+0+0+0+1], v[0:1]
 // Cr += Ar*Br
/*  mfmaIndex:5  */
/* localReadsVacancy: latencyLeft 1 */
_ds_load_b128 v[vgprValuA_X3_I0+0:vgprValuA_X3_I0+0+3], v[vgprLocalReadAddrA] offset:192 // L -> Reg lro=12 swapByteOffset=0 ti=8 vIdx=0 rIdx=0 oIdx=0 buffer=3 iui=0
s_cmp_eq_u32 s[sgprShadowLimitA+1], 0              // are we within 2^32?
v_mfma_f64_4x4x4f64 v[2+0:3+0], v[vgprValuB_X1_I0+0+0+0:vgprValuB_X1_I0+0+0+0+1], v[108:109], v[2:3]
 // Ci += -Ai*Br
/*  mfmaIndex:6  */
/* localReadsVacancy: latencyLeft 1 */
_ds_load_b128 v[vgprValuB_X3_I0+0:vgprValuB_X3_I0+0+3], v[vgprLocalReadAddrB] offset:192 // L -> Reg lro=12 swapByteOffset=0 ti=8 vIdx=0 rIdx=0 oIdx=0 buffer=3 iui=0
s_cmov_b32 s[sgprSrdA+2], s[sgprShadowLimitA+0]    // Move shadow to real if we are within 2^32
v_mfma_f64_4x4x4f64 v[0+0:1+0], v[vgprValuB_X1_I0+0+0+0+2:vgprValuB_X1_I0+0+0+0+2+1], v[vgprValuA_X1_I0+0+0+0+2:vgprValuA_X1_I0+0+0+0+2+1], v[0:1]
 // Cr += Ai*Bi
/*  mfmaIndex:7  */
/* localReadsVacancy: latencyLeft 1 */
_ds_load_b128 v[vgprValuA_X4_I0+0:vgprValuA_X4_I0+0+3], v[vgprLocalReadAddrA] offset:256 // L -> Reg lro=16 swapByteOffset=0 ti=8 vIdx=0 rIdx=0 oIdx=0 buffer=4 iui=0

/* global read inc B loopL */
s_add_u32 s[sgprSrdB+0], s[sgprSrdB+0], s[sgprGlobalReadIncsB+0] // gra SRD += inc(lower)
v_mfma_f64_4x4x4f64 v[2+0:3+0], v[vgprValuB_X1_I0+0+0+0+2:vgprValuB_X1_I0+0+0+0+2+1], v[vgprValuA_X1_I0+0+0+0:vgprValuA_X1_I0+0+0+0+1], v[2:3]
 // Ci += Ar*Bi
/* numPrefetchIter=0 */
/* dataAtIterA=0 numReadsIterA=2 skipReadsIterA=1 readsPerIterA=1 */
/* dataAtIterB=0 numReadsIterB=2 skipReadsIterB=1 readsPerIterB=1 */


/* iter 2 */

/*  grEndMfmaIndex:12, lwStartMfmaIndex:14, lwEndMfmaIndex:23  */
/*  numMfmaForLR:3, barrierMfmaIndex:28, LocalWritePerMfma:0.800 */
/*  mfmaIndex:8  */
/* localReadsVacancy: latencyLeft 1 */
_ds_load_b128 v[vgprValuB_X4_I0+0:vgprValuB_X4_I0+0+3], v[vgprLocalReadAddrB] offset:256 // L -> Reg lro=16 swapByteOffset=0 ti=8 vIdx=0 rIdx=0 oIdx=0 buffer=4 iui=0
s_addc_u32  s[sgprSrdB+1], s[sgprSrdB+1], 0        // gra SRD += inc(upper)
s_waitcnt lgkmcnt(4)                               // lgkmcnt=0 vmcnt=-1wait for prior local read local write old=2, new=2 newLW=0 newLR=0
v_add_f64 v[108:109], -v[vgprValuA_X2_I0+0+0+0+2:vgprValuA_X2_I0+0+0+0+2+1], 0 // Ai=-Ai
v_mfma_f64_4x4x4f64 v[0+0:1+0], v[vgprValuB_X2_I0+0+0+0:vgprValuB_X2_I0+0+0+0+1], v[vgprValuA_X2_I0+0+0+0:vgprValuA_X2_I0+0+0+0+1], v[0:1]
 // Cr += Ar*Br
/*  mfmaIndex:9  */
/* localReadsVacancy: latencyLeft 1 */
_ds_load_b128 v[vgprValuA_X5_I0+0:vgprValuA_X5_I0+0+3], v[vgprLocalReadAddrA] offset:320 // L -> Reg lro=20 swapByteOffset=0 ti=8 vIdx=0 rIdx=0 oIdx=0 buffer=5 iui=0
s_sub_u32 s[sgprShadowLimitB+0], s[sgprShadowLimitB+0], s[sgprGlobalReadIncsB+0] // limit -= inc)
v_mfma_f64_4x4x4f64 v[2+0:3+0], v[vgprValuB_X2_I0+0+0+0:vgprValuB_X2_I0+0+0+0+1], v[108:109], v[2:3]
 // Ci += -Ai*Br
/*  mfmaIndex:10  */
/* localReadsVacancy: latencyLeft 1 */
_ds_load_b128 v[vgprValuB_X5_I0+0:vgprValuB_X5_I0+0+3], v[vgprLocalReadAddrB] offset:320 // L -> Reg lro=20 swapByteOffset=0 ti=8 vIdx=0 rIdx=0 oIdx=0 buffer=5 iui=0
s_subb_u32 s[sgprShadowLimitB+1], s[sgprShadowLimitB+1], 0 // limit -= inc)
v_mfma_f64_4x4x4f64 v[0+0:1+0], v[vgprValuB_X2_I0+0+0+0+2:vgprValuB_X2_I0+0+0+0+2+1], v[vgprValuA_X2_I0+0+0+0+2:vgprValuA_X2_I0+0+0+0+2+1], v[0:1]
 // Cr += Ai*Bi
/*  mfmaIndex:11  */
/* localReadsVacancy: latencyLeft 1 */
_ds_load_b128 v[vgprValuA_X6_I0+0:vgprValuA_X6_I0+0+3], v[vgprLocalReadAddrA] offset:384 // L -> Reg lro=24 swapByteOffset=0 ti=8 vIdx=0 rIdx=0 oIdx=0 buffer=6 iui=0
s_cmp_eq_u32 s[sgprShadowLimitB+1], 0              // are we within 2^32?
v_mfma_f64_4x4x4f64 v[2+0:3+0], v[vgprValuB_X2_I0+0+0+0+2:vgprValuB_X2_I0+0+0+0+2+1], v[vgprValuA_X2_I0+0+0+0:vgprValuA_X2_I0+0+0+0+1], v[2:3]
 // Ci += Ar*Bi
/* numPrefetchIter=0 */
/* dataAtIterA=1 numReadsIterA=3 skipReadsIterA=1 readsPerIterA=1 */
/* dataAtIterB=1 numReadsIterB=3 skipReadsIterB=1 readsPerIterB=1 */


/* iter 3 */

/*  grEndMfmaIndex:12, lwStartMfmaIndex:14, lwEndMfmaIndex:23  */
/*  numMfmaForLR:3, barrierMfmaIndex:28, LocalWritePerMfma:0.800 */
/*  mfmaIndex:12  */
/* localReadsVacancy: latencyLeft 1 */
_ds_load_b128 v[vgprValuB_X6_I0+0:vgprValuB_X6_I0+0+3], v[vgprLocalReadAddrB] offset:384 // L -> Reg lro=24 swapByteOffset=0 ti=8 vIdx=0 rIdx=0 oIdx=0 buffer=6 iui=0
s_cmov_b32 s[sgprSrdB+2], s[sgprShadowLimitB+0]    // Move shadow to real if we are within 2^32
s_waitcnt lgkmcnt(5)                               // lgkmcnt=0 vmcnt=-1wait for prior local read local write old=1, new=1 newLW=0 newLR=0
v_add_f64 v[108:109], -v[vgprValuA_X3_I0+0+0+0+2:vgprValuA_X3_I0+0+0+0+2+1], 0 // Ai=-Ai
v_mfma_f64_4x4x4f64 v[0+0:1+0], v[vgprValuB_X3_I0+0+0+0:vgprValuB_X3_I0+0+0+0+1], v[vgprValuA_X3_I0+0+0+0:vgprValuA_X3_I0+0+0+0+1], v[0:1]
 // Cr += Ar*Br
/*  mfmaIndex:13  */
/* localReadsVacancy: latencyLeft 1 */
_ds_load_b128 v[vgprValuA_X7_I0+0:vgprValuA_X7_I0+0+3], v[vgprLocalReadAddrA] offset:448 // L -> Reg lro=28 swapByteOffset=0 ti=8 vIdx=0 rIdx=0 oIdx=0 buffer=7 iui=0
v_mfma_f64_4x4x4f64 v[2+0:3+0], v[vgprValuB_X3_I0+0+0+0:vgprValuB_X3_I0+0+0+0+1], v[108:109], v[2:3]
 // Ci += -Ai*Br
/*  mfmaIndex:14  */
/* sched write - iter 3 writesPerItem=1 */
s_waitcnt vmcnt(0)                                 // lgkmcnt=-1 vmcnt=0wait for global read before writing to local
_ds_store_b128 v[vgprLocalWriteAddrA], v[vgprG2LA+0:vgprG2LA+0+3] offset:16384 // lwoA_0_0_0_0 = (0*LSCA)*(MT0I+PAD) + (0*LSPA) = 16384
v_mfma_f64_4x4x4f64 v[0+0:1+0], v[vgprValuB_X3_I0+0+0+0+2:vgprValuB_X3_I0+0+0+0+2+1], v[vgprValuA_X3_I0+0+0+0+2:vgprValuA_X3_I0+0+0+0+2+1], v[0:1]
 // Cr += Ai*Bi
/*  mfmaIndex:15  */
_buffer_load_b128 v[vgprG2LA+0:vgprG2LA+0+3], v[vgprGlobalReadOffsetA+0], s[sgprSrdA:sgprSrdA+3], 0, offen offset:0 // G -> Reg 0_0_0_0
/* sched write - iter 3 writesPerItem=1 */
s_waitcnt vmcnt(0)                                 // lgkmcnt=-1 vmcnt=0wait for global read before writing to local
_ds_store_b128 v[vgprLocalWriteAddrA], v[vgprG2LA+4:vgprG2LA+4+3] offset:17440 // lwoA_0_0_1_0 = (0*LSCA)*(MT0I+PAD) + (1*LSPA) = 17440
v_mfma_f64_4x4x4f64 v[2+0:3+0], v[vgprValuB_X3_I0+0+0+0+2:vgprValuB_X3_I0+0+0+0+2+1], v[vgprValuA_X3_I0+0+0+0:vgprValuA_X3_I0+0+0+0+1], v[2:3]
 // Ci += Ar*Bi
/* numPrefetchIter=0 */
/* dataAtIterA=2 numReadsIterA=4 skipReadsIterA=1 readsPerIterA=1 */
/* dataAtIterB=2 numReadsIterB=4 skipReadsIterB=1 readsPerIterB=1 */


/* iter 4 */

/*  grEndMfmaIndex:12, lwStartMfmaIndex:14, lwEndMfmaIndex:23  */
/*  numMfmaForLR:3, barrierMfmaIndex:28, LocalWritePerMfma:0.800 */
/*  mfmaIndex:16  */
_buffer_load_b128 v[vgprG2LA+4:vgprG2LA+4+3], v[vgprGlobalReadOffsetA+0], s[sgprSrdA:sgprSrdA+3], s[sgprScalarGlobalReadOffsetA+0], offen offset:0 // G -> Reg 0_0_1_0
/* sched write - iter 4 writesPerItem=1 */
s_waitcnt vmcnt(0)                                 // lgkmcnt=-1 vmcnt=0wait for global read before writing to local
_ds_store_b128 v[vgprLocalWriteAddrA], v[vgprG2LA+8:vgprG2LA+8+3] offset:18496 // lwoA_0_0_2_0 = (0*LSCA)*(MT0I+PAD) + (2*LSPA) = 18496
s_waitcnt lgkmcnt(8)                               // lgkmcnt=0 vmcnt=-1wait for prior local read local write old=2, new=5 newLW=3 newLR=0
v_add_f64 v[108:109], -v[vgprValuA_X4_I0+0+0+0+2:vgprValuA_X4_I0+0+0+0+2+1], 0 // Ai=-Ai
v_mfma_f64_4x4x4f64 v[0+0:1+0], v[vgprValuB_X4_I0+0+0+0:vgprValuB_X4_I0+0+0+0+1], v[vgprValuA_X4_I0+0+0+0:vgprValuA_X4_I0+0+0+0+1], v[0:1]
 // Cr += Ar*Br
/*  mfmaIndex:17  */
_buffer_load_b128 v[vgprG2LA+8:vgprG2LA+8+3], v[vgprGlobalReadOffsetA+0], s[sgprSrdA:sgprSrdA+3], s[sgprScalarGlobalReadOffsetA+1], offen offset:0 // G -> Reg 0_0_2_0
/* sched write - iter 4 writesPerItem=1 */
s_waitcnt vmcnt(0)                                 // lgkmcnt=-1 vmcnt=0wait for global read before writing to local
_ds_store_b128 v[vgprLocalWriteAddrA], v[vgprG2LA+12:vgprG2LA+12+3] offset:19552 // lwoA_0_0_3_0 = (0*LSCA)*(MT0I+PAD) + (3*LSPA) = 19552
v_mfma_f64_4x4x4f64 v[2+0:3+0], v[vgprValuB_X4_I0+0+0+0:vgprValuB_X4_I0+0+0+0+1], v[108:109], v[2:3]
 // Ci += -Ai*Br
/*  mfmaIndex:18  */
/* localReadsVacancy: latencyLeft 1 */
_ds_load_b128 v[vgprValuB_X7_I0+0:vgprValuB_X7_I0+0+3], v[vgprLocalReadAddrB] offset:448 // L -> Reg lro=28 swapByteOffset=0 ti=8 vIdx=0 rIdx=0 oIdx=0 buffer=7 iui=0
_buffer_load_b128 v[vgprG2LA+12:vgprG2LA+12+3], v[vgprGlobalReadOffsetA+0], s[sgprSrdA:sgprSrdA+3], s[sgprScalarGlobalReadOffsetA+2], offen offset:0 // G -> Reg 0_0_3_0
v_mfma_f64_4x4x4f64 v[0+0:1+0], v[vgprValuB_X4_I0+0+0+0+2:vgprValuB_X4_I0+0+0+0+2+1], v[vgprValuA_X4_I0+0+0+0+2:vgprValuA_X4_I0+0+0+0+2+1], v[0:1]
 // Cr += Ai*Bi
/*  mfmaIndex:19  */
/* sched write - iter 4 writesPerItem=1 */
s_waitcnt vmcnt(0)                                 // lgkmcnt=-1 vmcnt=0wait for global read before writing to local
_ds_store_b128 v[vgprLocalWriteAddrB], v[vgprG2LB+0:vgprG2LB+0+3] offset:16384 // lwoB_0_0_0_0 = (0*LSCB)*(MT1J+PAD) + (0*LSPB) = 16384
v_mfma_f64_4x4x4f64 v[2+0:3+0], v[vgprValuB_X4_I0+0+0+0+2:vgprValuB_X4_I0+0+0+0+2+1], v[vgprValuA_X4_I0+0+0+0:vgprValuA_X4_I0+0+0+0+1], v[2:3]
 // Ci += Ar*Bi
/* numPrefetchIter=0 */
/* dataAtIterA=3 numReadsIterA=5 skipReadsIterA=1 readsPerIterA=1 */
/* dataAtIterB=3 numReadsIterB=5 skipReadsIterB=1 readsPerIterB=1 */


/* iter 5 (swap and reset local write pointers iteration)  */

/*  grEndMfmaIndex:12, lwStartMfmaIndex:14, lwEndMfmaIndex:23  */
/*  numMfmaForLR:3, barrierMfmaIndex:28, LocalWritePerMfma:0.800 */
/*  mfmaIndex:20  */
_buffer_load_b128 v[vgprG2LB+0:vgprG2LB+0+3], v[vgprGlobalReadOffsetB+0], s[sgprSrdB:sgprSrdB+3], 0, offen offset:0 // G -> Reg 0_0_0_0
/* sched write - iter 5 writesPerItem=1 */
s_waitcnt vmcnt(0)                                 // lgkmcnt=-1 vmcnt=0wait for global read before writing to local
_ds_store_b128 v[vgprLocalWriteAddrB], v[vgprG2LB+4:vgprG2LB+4+3] offset:17440 // lwoB_0_0_1_0 = (0*LSCB)*(MT1J+PAD) + (1*LSPB) = 17440
s_waitcnt lgkmcnt(8)                               // lgkmcnt=0 vmcnt=-1wait for prior local read local write old=2, new=6 newLW=4 newLR=0
v_add_f64 v[108:109], -v[vgprValuA_X5_I0+0+0+0+2:vgprValuA_X5_I0+0+0+0+2+1], 0 // Ai=-Ai
v_mfma_f64_4x4x4f64 v[0+0:1+0], v[vgprValuB_X5_I0+0+0+0:vgprValuB_X5_I0+0+0+0+1], v[vgprValuA_X5_I0+0+0+0:vgprValuA_X5_I0+0+0+0+1], v[0:1]
 // Cr += Ar*Br
/*  mfmaIndex:21  */
_buffer_load_b128 v[vgprG2LB+4:vgprG2LB+4+3], v[vgprGlobalReadOffsetB+0], s[sgprSrdB:sgprSrdB+3], s[sgprScalarGlobalReadOffsetB+0], offen offset:0 // G -> Reg 0_0_1_0
/* sched write - iter 5 writesPerItem=1 */
s_waitcnt vmcnt(0)                                 // lgkmcnt=-1 vmcnt=0wait for global read before writing to local
_ds_store_b128 v[vgprLocalWriteAddrB], v[vgprG2LB+8:vgprG2LB+8+3] offset:18496 // lwoB_0_0_2_0 = (0*LSCB)*(MT1J+PAD) + (2*LSPB) = 18496
v_mfma_f64_4x4x4f64 v[2+0:3+0], v[vgprValuB_X5_I0+0+0+0:vgprValuB_X5_I0+0+0+0+1], v[108:109], v[2:3]
 // Ci += -Ai*Br
/*  mfmaIndex:22  */
_buffer_load_b128 v[vgprG2LB+8:vgprG2LB+8+3], v[vgprGlobalReadOffsetB+0], s[sgprSrdB:sgprSrdB+3], s[sgprScalarGlobalReadOffsetB+1], offen offset:0 // G -> Reg 0_0_2_0
/* sched write - iter 5 writesPerItem=1 */
s_waitcnt vmcnt(0)                                 // lgkmcnt=-1 vmcnt=0wait for global read before writing to local
_ds_store_b128 v[vgprLocalWriteAddrB], v[vgprG2LB+12:vgprG2LB+12+3] offset:19552 // lwoB_0_0_3_0 = (0*LSCB)*(MT1J+PAD) + (3*LSPB) = 19552
v_mfma_f64_4x4x4f64 v[0+0:1+0], v[vgprValuB_X5_I0+0+0+0+2:vgprValuB_X5_I0+0+0+0+2+1], v[vgprValuA_X5_I0+0+0+0+2:vgprValuA_X5_I0+0+0+0+2+1], v[0:1]
 // Cr += Ai*Bi
/*  mfmaIndex:23  */
/* localReadsVacancy: latencyLeft 1 */
_buffer_load_b128 v[vgprG2LB+12:vgprG2LB+12+3], v[vgprGlobalReadOffsetB+0], s[sgprSrdB:sgprSrdB+3], s[sgprScalarGlobalReadOffsetB+2], offen offset:0 // G -> Reg 0_0_3_0

/* local write swap offsets a */

/* (EPS=1) local write swap internal offset -> 0 */

/* local write swap offsets b */

/* (EPS=1) local write swap internal offset -> 0 */
v_mfma_f64_4x4x4f64 v[2+0:3+0], v[vgprValuB_X5_I0+0+0+0+2:vgprValuB_X5_I0+0+0+0+2+1], v[vgprValuA_X5_I0+0+0+0:vgprValuA_X5_I0+0+0+0+1], v[2:3]
 // Ci += Ar*Bi
/* numPrefetchIter=0 */
/* dataAtIterA=4 numReadsIterA=6 skipReadsIterA=1 readsPerIterA=1 */
/* dataAtIterB=4 numReadsIterB=6 skipReadsIterB=1 readsPerIterB=1 */


/* iter 6 (reset local read pointers iteration)  (swap local read pointers iteration)  */

/*  grEndMfmaIndex:12, lwStartMfmaIndex:14, lwEndMfmaIndex:23  */
/*  numMfmaForLR:3, barrierMfmaIndex:28, LocalWritePerMfma:0.800 */
/*  mfmaIndex:24  */
/* localReadsVacancy: latencyLeft 1 */
s_waitcnt lgkmcnt(5)                               // lgkmcnt=0 vmcnt=-1wait for prior local read local write old=2, new=5 newLW=3 newLR=0
v_add_f64 v[108:109], -v[vgprValuA_X6_I0+0+0+0+2:vgprValuA_X6_I0+0+0+0+2+1], 0 // Ai=-Ai
v_mfma_f64_4x4x4f64 v[0+0:1+0], v[vgprValuB_X6_I0+0+0+0:vgprValuB_X6_I0+0+0+0+1], v[vgprValuA_X6_I0+0+0+0:vgprValuA_X6_I0+0+0+0+1], v[0:1]
 // Cr += Ar*Br
/*  mfmaIndex:25  */
/* localReadsVacancy: latencyLeft 1 */
v_mfma_f64_4x4x4f64 v[2+0:3+0], v[vgprValuB_X6_I0+0+0+0:vgprValuB_X6_I0+0+0+0+1], v[108:109], v[2:3]
 // Ci += -Ai*Br
/*  mfmaIndex:26  */
/* localReadsVacancy: latencyLeft 1 */
v_mfma_f64_4x4x4f64 v[0+0:1+0], v[vgprValuB_X6_I0+0+0+0+2:vgprValuB_X6_I0+0+0+0+2+1], v[vgprValuA_X6_I0+0+0+0+2:vgprValuA_X6_I0+0+0+0+2+1], v[0:1]
 // Cr += Ai*Bi
/*  mfmaIndex:27  */
/* localReadsVacancy: latencyLeft 1 */

/* local read swap offsets a */

/* local read swap internal offset -> 16384 */

/* local read swap offsets b */

/* local read swap internal offset -> 16384 */

/* local read init pointers a */

/* localReadInitPointers */

/* local read init pointers b */

/* localReadInitPointers */
v_mfma_f64_4x4x4f64 v[2+0:3+0], v[vgprValuB_X6_I0+0+0+0+2:vgprValuB_X6_I0+0+0+0+2+1], v[vgprValuA_X6_I0+0+0+0:vgprValuA_X6_I0+0+0+0+1], v[2:3]
 // Ci += Ar*Bi
/* numPrefetchIter=0 */
/* dataAtIterA=5 numReadsIterA=7 skipReadsIterA=1 readsPerIterA=1 */
/* dataAtIterB=5 numReadsIterB=7 skipReadsIterB=1 readsPerIterB=1 */


/* iter 7 */

/*  grEndMfmaIndex:12, lwStartMfmaIndex:14, lwEndMfmaIndex:23  */
/*  numMfmaForLR:3, barrierMfmaIndex:28, LocalWritePerMfma:0.800 */
/*  mfmaIndex:28  */
s_waitcnt lgkmcnt(0)                               // lgkmcnt=0 vmcnt=-13wait for local write
// Skip barrier: NumThreads=64
s_waitcnt lgkmcnt(0)                               // lgkmcnt=0 vmcnt=-1wait for prior local read local write old=0, new=0 newLW=0 newLR=0
v_add_f64 v[108:109], -v[vgprValuA_X7_I0+0+0+0+2:vgprValuA_X7_I0+0+0+0+2+1], 0 // Ai=-Ai
v_mfma_f64_4x4x4f64 v[0+0:1+0], v[vgprValuB_X7_I0+0+0+0:vgprValuB_X7_I0+0+0+0+1], v[vgprValuA_X7_I0+0+0+0:vgprValuA_X7_I0+0+0+0+1], v[0:1]
 // Cr += Ar*Br
/*  mfmaIndex:29  */
_ds_load_b128 v[vgprValuA_X0_I0+0:vgprValuA_X0_I0+0+3], v[vgprLocalReadAddrA] offset:16384 // L -> Reg lro=0 swapByteOffset=16384 ti=8 vIdx=0 rIdx=0 oIdx=0 buffer=0 iui=0
v_mfma_f64_4x4x4f64 v[2+0:3+0], v[vgprValuB_X7_I0+0+0+0:vgprValuB_X7_I0+0+0+0+1], v[108:109], v[2:3]
 // Ci += -Ai*Br
/*  mfmaIndex:30  */
_ds_load_b128 v[vgprValuB_X0_I0+0:vgprValuB_X0_I0+0+3], v[vgprLocalReadAddrB] offset:16384 // L -> Reg lro=0 swapByteOffset=16384 ti=8 vIdx=0 rIdx=0 oIdx=0 buffer=0 iui=0
v_mfma_f64_4x4x4f64 v[0+0:1+0], v[vgprValuB_X7_I0+0+0+0+2:vgprValuB_X7_I0+0+0+0+2+1], v[vgprValuA_X7_I0+0+0+0+2:vgprValuA_X7_I0+0+0+0+2+1], v[0:1]
 // Cr += Ai*Bi
/*  mfmaIndex:31  */
v_mfma_f64_4x4x4f64 v[2+0:3+0], v[vgprValuB_X7_I0+0+0+0+2:vgprValuB_X7_I0+0+0+0+2+1], v[vgprValuA_X7_I0+0+0+0:vgprValuA_X7_I0+0+0+0+1], v[2:3]
 // Ci += Ar*Bi
/* numPrefetchIter=1 */
/* dataAtIterA=6 numReadsIterA=7 skipReadsIterA=1 readsPerIterA=1 */
/* dataAtIterB=6 numReadsIterB=7 skipReadsIterB=1 readsPerIterB=1 */


/******************************************/
/* Unrolled Loop - End 1/2                */
/******************************************/


/* closeLoop loopL finalLoop=0 tailLoop=0 */
s_sub_u32 s[sgprLoopCounterL], s[sgprLoopCounterL], 1 // dec counterL
s_cmp_eq_i32 s[sgprLoopCounterL], 0x2              // counterL==2
s_cbranch_scc1 LoopEndL_oddexit_3                  // exit LoopL


/******************************************/
/* Unrolled Loop 2/2 - Begin              */
/******************************************/

label_0016: // LoopCopy2 


/* Begin Each Unroll: Check VGPR.checkin for INT8 LW */


	;; [unrolled: 1-line block ×3, first 2 shown]
/* iter 0 */

/*  grEndMfmaIndex:12, lwStartMfmaIndex:14, lwEndMfmaIndex:23  */
/*  numMfmaForLR:3, barrierMfmaIndex:28, LocalWritePerMfma:0.800 */
/*  mfmaIndex:0  */
s_waitcnt lgkmcnt(0)                               // lgkmcnt=0 vmcnt=-1wait for prior local read local write old=0, new=0 newLW=0 newLR=0
v_add_f64 v[108:109], -v[vgprValuA_X0_I0+0+0+0+2:vgprValuA_X0_I0+0+0+0+2+1], 0 // Ai=-Ai
v_mfma_f64_4x4x4f64 v[0+0:1+0], v[vgprValuB_X0_I0+0+0+0:vgprValuB_X0_I0+0+0+0+1], v[vgprValuA_X0_I0+0+0+0:vgprValuA_X0_I0+0+0+0+1], v[0:1]
 // Cr += Ar*Br
/*  mfmaIndex:1  */
_ds_load_b128 v[vgprValuA_X1_I0+0:vgprValuA_X1_I0+0+3], v[vgprLocalReadAddrA] offset:16448 // L -> Reg lro=4 swapByteOffset=16384 ti=8 vIdx=0 rIdx=0 oIdx=0 buffer=1 iui=0

/* global read inc A loopL */
s_add_u32 s[sgprSrdA+0], s[sgprSrdA+0], s[sgprGlobalReadIncsA+0] // gra SRD += inc(lower)
v_mfma_f64_4x4x4f64 v[2+0:3+0], v[vgprValuB_X0_I0+0+0+0:vgprValuB_X0_I0+0+0+0+1], v[108:109], v[2:3]
 // Ci += -Ai*Br
/*  mfmaIndex:2  */
_ds_load_b128 v[vgprValuB_X1_I0+0:vgprValuB_X1_I0+0+3], v[vgprLocalReadAddrB] offset:16448 // L -> Reg lro=4 swapByteOffset=16384 ti=8 vIdx=0 rIdx=0 oIdx=0 buffer=1 iui=0
s_addc_u32  s[sgprSrdA+1], s[sgprSrdA+1], 0        // gra SRD += inc(upper)
v_mfma_f64_4x4x4f64 v[0+0:1+0], v[vgprValuB_X0_I0+0+0+0+2:vgprValuB_X0_I0+0+0+0+2+1], v[vgprValuA_X0_I0+0+0+0+2:vgprValuA_X0_I0+0+0+0+2+1], v[0:1]
 // Cr += Ai*Bi
/*  mfmaIndex:3  */
/* localReadsVacancy: latencyLeft 1 */
_ds_load_b128 v[vgprValuA_X2_I0+0:vgprValuA_X2_I0+0+3], v[vgprLocalReadAddrA] offset:16512 // L -> Reg lro=8 swapByteOffset=16384 ti=8 vIdx=0 rIdx=0 oIdx=0 buffer=2 iui=0
s_sub_u32 s[sgprShadowLimitA+0], s[sgprShadowLimitA+0], s[sgprGlobalReadIncsA+0] // limit -= inc)
v_mfma_f64_4x4x4f64 v[2+0:3+0], v[vgprValuB_X0_I0+0+0+0+2:vgprValuB_X0_I0+0+0+0+2+1], v[vgprValuA_X0_I0+0+0+0:vgprValuA_X0_I0+0+0+0+1], v[2:3]
 // Ci += Ar*Bi
/* numPrefetchIter=0 */
/* dataAtIterA=-1 numReadsIterA=1 skipReadsIterA=1 readsPerIterA=1 */
/* dataAtIterB=-1 numReadsIterB=1 skipReadsIterB=1 readsPerIterB=1 */


/* iter 1 */

/*  grEndMfmaIndex:12, lwStartMfmaIndex:14, lwEndMfmaIndex:23  */
/*  numMfmaForLR:3, barrierMfmaIndex:28, LocalWritePerMfma:0.800 */
/*  mfmaIndex:4  */
_ds_load_b128 v[vgprValuB_X2_I0+0:vgprValuB_X2_I0+0+3], v[vgprLocalReadAddrB] offset:16512 // L -> Reg lro=8 swapByteOffset=16384 ti=8 vIdx=0 rIdx=0 oIdx=0 buffer=2 iui=0
s_subb_u32 s[sgprShadowLimitA+1], s[sgprShadowLimitA+1], 0 // limit -= inc)
s_waitcnt lgkmcnt(2)                               // lgkmcnt=0 vmcnt=-1wait for prior local read local write old=1, new=2 newLW=0 newLR=1
v_add_f64 v[108:109], -v[vgprValuA_X1_I0+0+0+0+2:vgprValuA_X1_I0+0+0+0+2+1], 0 // Ai=-Ai
v_mfma_f64_4x4x4f64 v[0+0:1+0], v[vgprValuB_X1_I0+0+0+0:vgprValuB_X1_I0+0+0+0+1], v[vgprValuA_X1_I0+0+0+0:vgprValuA_X1_I0+0+0+0+1], v[0:1]
 // Cr += Ar*Br
/*  mfmaIndex:5  */
/* localReadsVacancy: latencyLeft 1 */
_ds_load_b128 v[vgprValuA_X3_I0+0:vgprValuA_X3_I0+0+3], v[vgprLocalReadAddrA] offset:16576 // L -> Reg lro=12 swapByteOffset=16384 ti=8 vIdx=0 rIdx=0 oIdx=0 buffer=3 iui=0
s_cmp_eq_u32 s[sgprShadowLimitA+1], 0              // are we within 2^32?
v_mfma_f64_4x4x4f64 v[2+0:3+0], v[vgprValuB_X1_I0+0+0+0:vgprValuB_X1_I0+0+0+0+1], v[108:109], v[2:3]
 // Ci += -Ai*Br
/*  mfmaIndex:6  */
/* localReadsVacancy: latencyLeft 1 */
_ds_load_b128 v[vgprValuB_X3_I0+0:vgprValuB_X3_I0+0+3], v[vgprLocalReadAddrB] offset:16576 // L -> Reg lro=12 swapByteOffset=16384 ti=8 vIdx=0 rIdx=0 oIdx=0 buffer=3 iui=0
s_cmov_b32 s[sgprSrdA+2], s[sgprShadowLimitA+0]    // Move shadow to real if we are within 2^32
v_mfma_f64_4x4x4f64 v[0+0:1+0], v[vgprValuB_X1_I0+0+0+0+2:vgprValuB_X1_I0+0+0+0+2+1], v[vgprValuA_X1_I0+0+0+0+2:vgprValuA_X1_I0+0+0+0+2+1], v[0:1]
 // Cr += Ai*Bi
/*  mfmaIndex:7  */
/* localReadsVacancy: latencyLeft 1 */
_ds_load_b128 v[vgprValuA_X4_I0+0:vgprValuA_X4_I0+0+3], v[vgprLocalReadAddrA] offset:16640 // L -> Reg lro=16 swapByteOffset=16384 ti=8 vIdx=0 rIdx=0 oIdx=0 buffer=4 iui=0

/* global read inc B loopL */
s_add_u32 s[sgprSrdB+0], s[sgprSrdB+0], s[sgprGlobalReadIncsB+0] // gra SRD += inc(lower)
v_mfma_f64_4x4x4f64 v[2+0:3+0], v[vgprValuB_X1_I0+0+0+0+2:vgprValuB_X1_I0+0+0+0+2+1], v[vgprValuA_X1_I0+0+0+0:vgprValuA_X1_I0+0+0+0+1], v[2:3]
 // Ci += Ar*Bi
/* numPrefetchIter=0 */
/* dataAtIterA=0 numReadsIterA=2 skipReadsIterA=1 readsPerIterA=1 */
/* dataAtIterB=0 numReadsIterB=2 skipReadsIterB=1 readsPerIterB=1 */


/* iter 2 */

/*  grEndMfmaIndex:12, lwStartMfmaIndex:14, lwEndMfmaIndex:23  */
/*  numMfmaForLR:3, barrierMfmaIndex:28, LocalWritePerMfma:0.800 */
/*  mfmaIndex:8  */
/* localReadsVacancy: latencyLeft 1 */
_ds_load_b128 v[vgprValuB_X4_I0+0:vgprValuB_X4_I0+0+3], v[vgprLocalReadAddrB] offset:16640 // L -> Reg lro=16 swapByteOffset=16384 ti=8 vIdx=0 rIdx=0 oIdx=0 buffer=4 iui=0
s_addc_u32  s[sgprSrdB+1], s[sgprSrdB+1], 0        // gra SRD += inc(upper)
s_waitcnt lgkmcnt(4)                               // lgkmcnt=0 vmcnt=-1wait for prior local read local write old=2, new=2 newLW=0 newLR=0
v_add_f64 v[108:109], -v[vgprValuA_X2_I0+0+0+0+2:vgprValuA_X2_I0+0+0+0+2+1], 0 // Ai=-Ai
v_mfma_f64_4x4x4f64 v[0+0:1+0], v[vgprValuB_X2_I0+0+0+0:vgprValuB_X2_I0+0+0+0+1], v[vgprValuA_X2_I0+0+0+0:vgprValuA_X2_I0+0+0+0+1], v[0:1]
 // Cr += Ar*Br
/*  mfmaIndex:9  */
/* localReadsVacancy: latencyLeft 1 */
_ds_load_b128 v[vgprValuA_X5_I0+0:vgprValuA_X5_I0+0+3], v[vgprLocalReadAddrA] offset:16704 // L -> Reg lro=20 swapByteOffset=16384 ti=8 vIdx=0 rIdx=0 oIdx=0 buffer=5 iui=0
s_sub_u32 s[sgprShadowLimitB+0], s[sgprShadowLimitB+0], s[sgprGlobalReadIncsB+0] // limit -= inc)
v_mfma_f64_4x4x4f64 v[2+0:3+0], v[vgprValuB_X2_I0+0+0+0:vgprValuB_X2_I0+0+0+0+1], v[108:109], v[2:3]
 // Ci += -Ai*Br
/*  mfmaIndex:10  */
/* localReadsVacancy: latencyLeft 1 */
_ds_load_b128 v[vgprValuB_X5_I0+0:vgprValuB_X5_I0+0+3], v[vgprLocalReadAddrB] offset:16704 // L -> Reg lro=20 swapByteOffset=16384 ti=8 vIdx=0 rIdx=0 oIdx=0 buffer=5 iui=0
s_subb_u32 s[sgprShadowLimitB+1], s[sgprShadowLimitB+1], 0 // limit -= inc)
v_mfma_f64_4x4x4f64 v[0+0:1+0], v[vgprValuB_X2_I0+0+0+0+2:vgprValuB_X2_I0+0+0+0+2+1], v[vgprValuA_X2_I0+0+0+0+2:vgprValuA_X2_I0+0+0+0+2+1], v[0:1]
 // Cr += Ai*Bi
/*  mfmaIndex:11  */
/* localReadsVacancy: latencyLeft 1 */
_ds_load_b128 v[vgprValuA_X6_I0+0:vgprValuA_X6_I0+0+3], v[vgprLocalReadAddrA] offset:16768 // L -> Reg lro=24 swapByteOffset=16384 ti=8 vIdx=0 rIdx=0 oIdx=0 buffer=6 iui=0
s_cmp_eq_u32 s[sgprShadowLimitB+1], 0              // are we within 2^32?
v_mfma_f64_4x4x4f64 v[2+0:3+0], v[vgprValuB_X2_I0+0+0+0+2:vgprValuB_X2_I0+0+0+0+2+1], v[vgprValuA_X2_I0+0+0+0:vgprValuA_X2_I0+0+0+0+1], v[2:3]
 // Ci += Ar*Bi
/* numPrefetchIter=0 */
/* dataAtIterA=1 numReadsIterA=3 skipReadsIterA=1 readsPerIterA=1 */
/* dataAtIterB=1 numReadsIterB=3 skipReadsIterB=1 readsPerIterB=1 */


/* iter 3 */

/*  grEndMfmaIndex:12, lwStartMfmaIndex:14, lwEndMfmaIndex:23  */
/*  numMfmaForLR:3, barrierMfmaIndex:28, LocalWritePerMfma:0.800 */
/*  mfmaIndex:12  */
/* localReadsVacancy: latencyLeft 1 */
_ds_load_b128 v[vgprValuB_X6_I0+0:vgprValuB_X6_I0+0+3], v[vgprLocalReadAddrB] offset:16768 // L -> Reg lro=24 swapByteOffset=16384 ti=8 vIdx=0 rIdx=0 oIdx=0 buffer=6 iui=0
s_cmov_b32 s[sgprSrdB+2], s[sgprShadowLimitB+0]    // Move shadow to real if we are within 2^32
s_waitcnt lgkmcnt(5)                               // lgkmcnt=0 vmcnt=-1wait for prior local read local write old=1, new=1 newLW=0 newLR=0
v_add_f64 v[108:109], -v[vgprValuA_X3_I0+0+0+0+2:vgprValuA_X3_I0+0+0+0+2+1], 0 // Ai=-Ai
v_mfma_f64_4x4x4f64 v[0+0:1+0], v[vgprValuB_X3_I0+0+0+0:vgprValuB_X3_I0+0+0+0+1], v[vgprValuA_X3_I0+0+0+0:vgprValuA_X3_I0+0+0+0+1], v[0:1]
 // Cr += Ar*Br
/*  mfmaIndex:13  */
/* localReadsVacancy: latencyLeft 1 */
_ds_load_b128 v[vgprValuA_X7_I0+0:vgprValuA_X7_I0+0+3], v[vgprLocalReadAddrA] offset:16832 // L -> Reg lro=28 swapByteOffset=16384 ti=8 vIdx=0 rIdx=0 oIdx=0 buffer=7 iui=0
v_mfma_f64_4x4x4f64 v[2+0:3+0], v[vgprValuB_X3_I0+0+0+0:vgprValuB_X3_I0+0+0+0+1], v[108:109], v[2:3]
 // Ci += -Ai*Br
/*  mfmaIndex:14  */
/* sched write - iter 3 writesPerItem=1 */
s_waitcnt vmcnt(0)                                 // lgkmcnt=-1 vmcnt=0wait for global read before writing to local
_ds_store_b128 v[vgprLocalWriteAddrA], v[vgprG2LA+0:vgprG2LA+0+3] offset:0 // lwoA_0_0_0_0 = (0*LSCA)*(MT0I+PAD) + (0*LSPA) = 0
v_mfma_f64_4x4x4f64 v[0+0:1+0], v[vgprValuB_X3_I0+0+0+0+2:vgprValuB_X3_I0+0+0+0+2+1], v[vgprValuA_X3_I0+0+0+0+2:vgprValuA_X3_I0+0+0+0+2+1], v[0:1]
 // Cr += Ai*Bi
/*  mfmaIndex:15  */
_buffer_load_b128 v[vgprG2LA+0:vgprG2LA+0+3], v[vgprGlobalReadOffsetA+0], s[sgprSrdA:sgprSrdA+3], 0, offen offset:0 // G -> Reg 0_0_0_0
/* sched write - iter 3 writesPerItem=1 */
s_waitcnt vmcnt(0)                                 // lgkmcnt=-1 vmcnt=0wait for global read before writing to local
_ds_store_b128 v[vgprLocalWriteAddrA], v[vgprG2LA+4:vgprG2LA+4+3] offset:1056 // lwoA_0_0_1_0 = (0*LSCA)*(MT0I+PAD) + (1*LSPA) = 1056
v_mfma_f64_4x4x4f64 v[2+0:3+0], v[vgprValuB_X3_I0+0+0+0+2:vgprValuB_X3_I0+0+0+0+2+1], v[vgprValuA_X3_I0+0+0+0:vgprValuA_X3_I0+0+0+0+1], v[2:3]
 // Ci += Ar*Bi
/* numPrefetchIter=0 */
/* dataAtIterA=2 numReadsIterA=4 skipReadsIterA=1 readsPerIterA=1 */
/* dataAtIterB=2 numReadsIterB=4 skipReadsIterB=1 readsPerIterB=1 */


/* iter 4 */

/*  grEndMfmaIndex:12, lwStartMfmaIndex:14, lwEndMfmaIndex:23  */
/*  numMfmaForLR:3, barrierMfmaIndex:28, LocalWritePerMfma:0.800 */
/*  mfmaIndex:16  */
_buffer_load_b128 v[vgprG2LA+4:vgprG2LA+4+3], v[vgprGlobalReadOffsetA+0], s[sgprSrdA:sgprSrdA+3], s[sgprScalarGlobalReadOffsetA+0], offen offset:0 // G -> Reg 0_0_1_0
/* sched write - iter 4 writesPerItem=1 */
s_waitcnt vmcnt(0)                                 // lgkmcnt=-1 vmcnt=0wait for global read before writing to local
_ds_store_b128 v[vgprLocalWriteAddrA], v[vgprG2LA+8:vgprG2LA+8+3] offset:2112 // lwoA_0_0_2_0 = (0*LSCA)*(MT0I+PAD) + (2*LSPA) = 2112
s_waitcnt lgkmcnt(8)                               // lgkmcnt=0 vmcnt=-1wait for prior local read local write old=2, new=5 newLW=3 newLR=0
v_add_f64 v[108:109], -v[vgprValuA_X4_I0+0+0+0+2:vgprValuA_X4_I0+0+0+0+2+1], 0 // Ai=-Ai
v_mfma_f64_4x4x4f64 v[0+0:1+0], v[vgprValuB_X4_I0+0+0+0:vgprValuB_X4_I0+0+0+0+1], v[vgprValuA_X4_I0+0+0+0:vgprValuA_X4_I0+0+0+0+1], v[0:1]
 // Cr += Ar*Br
/*  mfmaIndex:17  */
_buffer_load_b128 v[vgprG2LA+8:vgprG2LA+8+3], v[vgprGlobalReadOffsetA+0], s[sgprSrdA:sgprSrdA+3], s[sgprScalarGlobalReadOffsetA+1], offen offset:0 // G -> Reg 0_0_2_0
/* sched write - iter 4 writesPerItem=1 */
s_waitcnt vmcnt(0)                                 // lgkmcnt=-1 vmcnt=0wait for global read before writing to local
_ds_store_b128 v[vgprLocalWriteAddrA], v[vgprG2LA+12:vgprG2LA+12+3] offset:3168 // lwoA_0_0_3_0 = (0*LSCA)*(MT0I+PAD) + (3*LSPA) = 3168
v_mfma_f64_4x4x4f64 v[2+0:3+0], v[vgprValuB_X4_I0+0+0+0:vgprValuB_X4_I0+0+0+0+1], v[108:109], v[2:3]
 // Ci += -Ai*Br
/*  mfmaIndex:18  */
/* localReadsVacancy: latencyLeft 1 */
_ds_load_b128 v[vgprValuB_X7_I0+0:vgprValuB_X7_I0+0+3], v[vgprLocalReadAddrB] offset:16832 // L -> Reg lro=28 swapByteOffset=16384 ti=8 vIdx=0 rIdx=0 oIdx=0 buffer=7 iui=0
_buffer_load_b128 v[vgprG2LA+12:vgprG2LA+12+3], v[vgprGlobalReadOffsetA+0], s[sgprSrdA:sgprSrdA+3], s[sgprScalarGlobalReadOffsetA+2], offen offset:0 // G -> Reg 0_0_3_0
v_mfma_f64_4x4x4f64 v[0+0:1+0], v[vgprValuB_X4_I0+0+0+0+2:vgprValuB_X4_I0+0+0+0+2+1], v[vgprValuA_X4_I0+0+0+0+2:vgprValuA_X4_I0+0+0+0+2+1], v[0:1]
 // Cr += Ai*Bi
/*  mfmaIndex:19  */
/* sched write - iter 4 writesPerItem=1 */
s_waitcnt vmcnt(0)                                 // lgkmcnt=-1 vmcnt=0wait for global read before writing to local
_ds_store_b128 v[vgprLocalWriteAddrB], v[vgprG2LB+0:vgprG2LB+0+3] offset:0 // lwoB_0_0_0_0 = (0*LSCB)*(MT1J+PAD) + (0*LSPB) = 0
v_mfma_f64_4x4x4f64 v[2+0:3+0], v[vgprValuB_X4_I0+0+0+0+2:vgprValuB_X4_I0+0+0+0+2+1], v[vgprValuA_X4_I0+0+0+0:vgprValuA_X4_I0+0+0+0+1], v[2:3]
 // Ci += Ar*Bi
/* numPrefetchIter=0 */
/* dataAtIterA=3 numReadsIterA=5 skipReadsIterA=1 readsPerIterA=1 */
/* dataAtIterB=3 numReadsIterB=5 skipReadsIterB=1 readsPerIterB=1 */


/* iter 5 (swap and reset local write pointers iteration)  */

/*  grEndMfmaIndex:12, lwStartMfmaIndex:14, lwEndMfmaIndex:23  */
/*  numMfmaForLR:3, barrierMfmaIndex:28, LocalWritePerMfma:0.800 */
/*  mfmaIndex:20  */
_buffer_load_b128 v[vgprG2LB+0:vgprG2LB+0+3], v[vgprGlobalReadOffsetB+0], s[sgprSrdB:sgprSrdB+3], 0, offen offset:0 // G -> Reg 0_0_0_0
/* sched write - iter 5 writesPerItem=1 */
s_waitcnt vmcnt(0)                                 // lgkmcnt=-1 vmcnt=0wait for global read before writing to local
_ds_store_b128 v[vgprLocalWriteAddrB], v[vgprG2LB+4:vgprG2LB+4+3] offset:1056 // lwoB_0_0_1_0 = (0*LSCB)*(MT1J+PAD) + (1*LSPB) = 1056
s_waitcnt lgkmcnt(8)                               // lgkmcnt=0 vmcnt=-1wait for prior local read local write old=2, new=6 newLW=4 newLR=0
v_add_f64 v[108:109], -v[vgprValuA_X5_I0+0+0+0+2:vgprValuA_X5_I0+0+0+0+2+1], 0 // Ai=-Ai
v_mfma_f64_4x4x4f64 v[0+0:1+0], v[vgprValuB_X5_I0+0+0+0:vgprValuB_X5_I0+0+0+0+1], v[vgprValuA_X5_I0+0+0+0:vgprValuA_X5_I0+0+0+0+1], v[0:1]
 // Cr += Ar*Br
/*  mfmaIndex:21  */
_buffer_load_b128 v[vgprG2LB+4:vgprG2LB+4+3], v[vgprGlobalReadOffsetB+0], s[sgprSrdB:sgprSrdB+3], s[sgprScalarGlobalReadOffsetB+0], offen offset:0 // G -> Reg 0_0_1_0
/* sched write - iter 5 writesPerItem=1 */
s_waitcnt vmcnt(0)                                 // lgkmcnt=-1 vmcnt=0wait for global read before writing to local
_ds_store_b128 v[vgprLocalWriteAddrB], v[vgprG2LB+8:vgprG2LB+8+3] offset:2112 // lwoB_0_0_2_0 = (0*LSCB)*(MT1J+PAD) + (2*LSPB) = 2112
v_mfma_f64_4x4x4f64 v[2+0:3+0], v[vgprValuB_X5_I0+0+0+0:vgprValuB_X5_I0+0+0+0+1], v[108:109], v[2:3]
 // Ci += -Ai*Br
/*  mfmaIndex:22  */
_buffer_load_b128 v[vgprG2LB+8:vgprG2LB+8+3], v[vgprGlobalReadOffsetB+0], s[sgprSrdB:sgprSrdB+3], s[sgprScalarGlobalReadOffsetB+1], offen offset:0 // G -> Reg 0_0_2_0
/* sched write - iter 5 writesPerItem=1 */
s_waitcnt vmcnt(0)                                 // lgkmcnt=-1 vmcnt=0wait for global read before writing to local
_ds_store_b128 v[vgprLocalWriteAddrB], v[vgprG2LB+12:vgprG2LB+12+3] offset:3168 // lwoB_0_0_3_0 = (0*LSCB)*(MT1J+PAD) + (3*LSPB) = 3168
v_mfma_f64_4x4x4f64 v[0+0:1+0], v[vgprValuB_X5_I0+0+0+0+2:vgprValuB_X5_I0+0+0+0+2+1], v[vgprValuA_X5_I0+0+0+0+2:vgprValuA_X5_I0+0+0+0+2+1], v[0:1]
 // Cr += Ai*Bi
/*  mfmaIndex:23  */
/* localReadsVacancy: latencyLeft 1 */
_buffer_load_b128 v[vgprG2LB+12:vgprG2LB+12+3], v[vgprGlobalReadOffsetB+0], s[sgprSrdB:sgprSrdB+3], s[sgprScalarGlobalReadOffsetB+2], offen offset:0 // G -> Reg 0_0_3_0

/* local write swap offsets a */

/* (EPS=1) local write swap internal offset -> 16384 */

/* local write swap offsets b */

/* (EPS=1) local write swap internal offset -> 16384 */
v_mfma_f64_4x4x4f64 v[2+0:3+0], v[vgprValuB_X5_I0+0+0+0+2:vgprValuB_X5_I0+0+0+0+2+1], v[vgprValuA_X5_I0+0+0+0:vgprValuA_X5_I0+0+0+0+1], v[2:3]
 // Ci += Ar*Bi
/* numPrefetchIter=0 */
/* dataAtIterA=4 numReadsIterA=6 skipReadsIterA=1 readsPerIterA=1 */
/* dataAtIterB=4 numReadsIterB=6 skipReadsIterB=1 readsPerIterB=1 */


/* iter 6 (reset local read pointers iteration)  (swap local read pointers iteration)  */

/*  grEndMfmaIndex:12, lwStartMfmaIndex:14, lwEndMfmaIndex:23  */
/*  numMfmaForLR:3, barrierMfmaIndex:28, LocalWritePerMfma:0.800 */
/*  mfmaIndex:24  */
/* localReadsVacancy: latencyLeft 1 */
s_waitcnt lgkmcnt(5)                               // lgkmcnt=0 vmcnt=-1wait for prior local read local write old=2, new=5 newLW=3 newLR=0
v_add_f64 v[108:109], -v[vgprValuA_X6_I0+0+0+0+2:vgprValuA_X6_I0+0+0+0+2+1], 0 // Ai=-Ai
v_mfma_f64_4x4x4f64 v[0+0:1+0], v[vgprValuB_X6_I0+0+0+0:vgprValuB_X6_I0+0+0+0+1], v[vgprValuA_X6_I0+0+0+0:vgprValuA_X6_I0+0+0+0+1], v[0:1]
 // Cr += Ar*Br
/*  mfmaIndex:25  */
/* localReadsVacancy: latencyLeft 1 */
v_mfma_f64_4x4x4f64 v[2+0:3+0], v[vgprValuB_X6_I0+0+0+0:vgprValuB_X6_I0+0+0+0+1], v[108:109], v[2:3]
 // Ci += -Ai*Br
/*  mfmaIndex:26  */
/* localReadsVacancy: latencyLeft 1 */
v_mfma_f64_4x4x4f64 v[0+0:1+0], v[vgprValuB_X6_I0+0+0+0+2:vgprValuB_X6_I0+0+0+0+2+1], v[vgprValuA_X6_I0+0+0+0+2:vgprValuA_X6_I0+0+0+0+2+1], v[0:1]
 // Cr += Ai*Bi
/*  mfmaIndex:27  */
/* localReadsVacancy: latencyLeft 1 */

/* local read swap offsets a */

/* local read swap internal offset -> 0 */

/* local read swap offsets b */

/* local read swap internal offset -> 0 */

/* local read init pointers a */

/* localReadInitPointers */

/* local read init pointers b */

/* localReadInitPointers */
v_mfma_f64_4x4x4f64 v[2+0:3+0], v[vgprValuB_X6_I0+0+0+0+2:vgprValuB_X6_I0+0+0+0+2+1], v[vgprValuA_X6_I0+0+0+0:vgprValuA_X6_I0+0+0+0+1], v[2:3]
 // Ci += Ar*Bi
/* numPrefetchIter=0 */
/* dataAtIterA=5 numReadsIterA=7 skipReadsIterA=1 readsPerIterA=1 */
/* dataAtIterB=5 numReadsIterB=7 skipReadsIterB=1 readsPerIterB=1 */


/* iter 7 */

/*  grEndMfmaIndex:12, lwStartMfmaIndex:14, lwEndMfmaIndex:23  */
/*  numMfmaForLR:3, barrierMfmaIndex:28, LocalWritePerMfma:0.800 */
/*  mfmaIndex:28  */
s_waitcnt lgkmcnt(0)                               // lgkmcnt=0 vmcnt=-13wait for local write
// Skip barrier: NumThreads=64
s_waitcnt lgkmcnt(0)                               // lgkmcnt=0 vmcnt=-1wait for prior local read local write old=0, new=0 newLW=0 newLR=0
v_add_f64 v[108:109], -v[vgprValuA_X7_I0+0+0+0+2:vgprValuA_X7_I0+0+0+0+2+1], 0 // Ai=-Ai
v_mfma_f64_4x4x4f64 v[0+0:1+0], v[vgprValuB_X7_I0+0+0+0:vgprValuB_X7_I0+0+0+0+1], v[vgprValuA_X7_I0+0+0+0:vgprValuA_X7_I0+0+0+0+1], v[0:1]
 // Cr += Ar*Br
/*  mfmaIndex:29  */
_ds_load_b128 v[vgprValuA_X0_I0+0:vgprValuA_X0_I0+0+3], v[vgprLocalReadAddrA] offset:0 // L -> Reg lro=0 swapByteOffset=0 ti=8 vIdx=0 rIdx=0 oIdx=0 buffer=0 iui=0
v_mfma_f64_4x4x4f64 v[2+0:3+0], v[vgprValuB_X7_I0+0+0+0:vgprValuB_X7_I0+0+0+0+1], v[108:109], v[2:3]
 // Ci += -Ai*Br
/*  mfmaIndex:30  */
_ds_load_b128 v[vgprValuB_X0_I0+0:vgprValuB_X0_I0+0+3], v[vgprLocalReadAddrB] offset:0 // L -> Reg lro=0 swapByteOffset=0 ti=8 vIdx=0 rIdx=0 oIdx=0 buffer=0 iui=0
v_mfma_f64_4x4x4f64 v[0+0:1+0], v[vgprValuB_X7_I0+0+0+0+2:vgprValuB_X7_I0+0+0+0+2+1], v[vgprValuA_X7_I0+0+0+0+2:vgprValuA_X7_I0+0+0+0+2+1], v[0:1]
 // Cr += Ai*Bi
/*  mfmaIndex:31  */
v_mfma_f64_4x4x4f64 v[2+0:3+0], v[vgprValuB_X7_I0+0+0+0+2:vgprValuB_X7_I0+0+0+0+2+1], v[vgprValuA_X7_I0+0+0+0:vgprValuA_X7_I0+0+0+0+1], v[2:3]
 // Ci += Ar*Bi
/* numPrefetchIter=1 */
/* dataAtIterA=6 numReadsIterA=7 skipReadsIterA=1 readsPerIterA=1 */
/* dataAtIterB=6 numReadsIterB=7 skipReadsIterB=1 readsPerIterB=1 */


/******************************************/
/* Unrolled Loop - End 2/2 (final)        */
/******************************************/


/* closeLoop loopL finalLoop=1 tailLoop=0 */
s_sub_u32 s[sgprLoopCounterL], s[sgprLoopCounterL], 1 // dec counterL
s_cmp_eq_i32 s[sgprLoopCounterL], 0x2              // counterL==2
s_cbranch_scc0 LoopBeginL_1                        // restart LoopL
LoopEndL_evenexit_4: // unroll loop eveniter exit
v_xor_b32 v[vgprLocalWriteAddrA+0], 0x4000, v[vgprLocalWriteAddrA+0] // swap Red Blk
v_xor_b32 v[vgprLocalWriteAddrB+0], 0x4000, v[vgprLocalWriteAddrB+0] // swap Red Blk

/* (EPS=1) local write swap internal offset -> 0 */

/* (EPS=1) local write swap internal offset -> 0 */
s_branch LoopEndL_2                                // exit unroll loopL (and skip second exit code)
LoopEndL_oddexit_3: // unroll loop odditer exit

/* Select high bank of LDS */
v_xor_b32 v[vgprLocalReadAddrA], 0x4000, v[vgprLocalReadAddrA] // swap Red Blk
v_xor_b32 v[vgprLocalReadAddrB], 0x4000, v[vgprLocalReadAddrB] // swap Red Blk
LoopEndL_2:


/* Before NLL: Check VGPR.checkin for INT8 LW */


/******************************************/
/* Ord. NoGlobalLoadLoop - Begin                                      */
/******************************************/


	;; [unrolled: 1-line block ×3, first 2 shown]
/* iter 0 */

/*  grEndMfmaIndex:12, lwStartMfmaIndex:14, lwEndMfmaIndex:23  */
/*  numMfmaForLR:3, barrierMfmaIndex:28, LocalWritePerMfma:0.800 */
/*  mfmaIndex:0  */
s_waitcnt lgkmcnt(0)                               // lgkmcnt=0 vmcnt=-1wait for prior local read local write old=0, new=0 newLW=0 newLR=0
v_add_f64 v[108:109], -v[vgprValuA_X0_I0+0+0+0+2:vgprValuA_X0_I0+0+0+0+2+1], 0 // Ai=-Ai
v_mfma_f64_4x4x4f64 v[0+0:1+0], v[vgprValuB_X0_I0+0+0+0:vgprValuB_X0_I0+0+0+0+1], v[vgprValuA_X0_I0+0+0+0:vgprValuA_X0_I0+0+0+0+1], v[0:1]
 // Cr += Ar*Br
/*  mfmaIndex:1  */
_ds_load_b128 v[vgprValuA_X1_I0+0:vgprValuA_X1_I0+0+3], v[vgprLocalReadAddrA] offset:64 // L -> Reg lro=4 swapByteOffset=0 ti=8 vIdx=0 rIdx=0 oIdx=0 buffer=1 iui=0

/* global read inc A loopL */
s_add_u32 s[sgprSrdA+0], s[sgprSrdA+0], s[sgprGlobalReadIncsA+0] // gra SRD += inc(lower)
v_mfma_f64_4x4x4f64 v[2+0:3+0], v[vgprValuB_X0_I0+0+0+0:vgprValuB_X0_I0+0+0+0+1], v[108:109], v[2:3]
 // Ci += -Ai*Br
/*  mfmaIndex:2  */
_ds_load_b128 v[vgprValuB_X1_I0+0:vgprValuB_X1_I0+0+3], v[vgprLocalReadAddrB] offset:64 // L -> Reg lro=4 swapByteOffset=0 ti=8 vIdx=0 rIdx=0 oIdx=0 buffer=1 iui=0
s_addc_u32  s[sgprSrdA+1], s[sgprSrdA+1], 0        // gra SRD += inc(upper)
v_mfma_f64_4x4x4f64 v[0+0:1+0], v[vgprValuB_X0_I0+0+0+0+2:vgprValuB_X0_I0+0+0+0+2+1], v[vgprValuA_X0_I0+0+0+0+2:vgprValuA_X0_I0+0+0+0+2+1], v[0:1]
 // Cr += Ai*Bi
/*  mfmaIndex:3  */
/* localReadsVacancy: latencyLeft 1 */
_ds_load_b128 v[vgprValuA_X2_I0+0:vgprValuA_X2_I0+0+3], v[vgprLocalReadAddrA] offset:128 // L -> Reg lro=8 swapByteOffset=0 ti=8 vIdx=0 rIdx=0 oIdx=0 buffer=2 iui=0
s_sub_u32 s[sgprShadowLimitA+0], s[sgprShadowLimitA+0], s[sgprGlobalReadIncsA+0] // limit -= inc)
v_mfma_f64_4x4x4f64 v[2+0:3+0], v[vgprValuB_X0_I0+0+0+0+2:vgprValuB_X0_I0+0+0+0+2+1], v[vgprValuA_X0_I0+0+0+0:vgprValuA_X0_I0+0+0+0+1], v[2:3]
 // Ci += Ar*Bi
/* numPrefetchIter=0 */
/* dataAtIterA=-1 numReadsIterA=1 skipReadsIterA=1 readsPerIterA=1 */
/* dataAtIterB=-1 numReadsIterB=1 skipReadsIterB=1 readsPerIterB=1 */


/* iter 1 */

/*  grEndMfmaIndex:12, lwStartMfmaIndex:14, lwEndMfmaIndex:23  */
/*  numMfmaForLR:3, barrierMfmaIndex:28, LocalWritePerMfma:0.800 */
/*  mfmaIndex:4  */
_ds_load_b128 v[vgprValuB_X2_I0+0:vgprValuB_X2_I0+0+3], v[vgprLocalReadAddrB] offset:128 // L -> Reg lro=8 swapByteOffset=0 ti=8 vIdx=0 rIdx=0 oIdx=0 buffer=2 iui=0
s_subb_u32 s[sgprShadowLimitA+1], s[sgprShadowLimitA+1], 0 // limit -= inc)
s_waitcnt lgkmcnt(2)                               // lgkmcnt=0 vmcnt=-1wait for prior local read local write old=1, new=2 newLW=0 newLR=1
v_add_f64 v[108:109], -v[vgprValuA_X1_I0+0+0+0+2:vgprValuA_X1_I0+0+0+0+2+1], 0 // Ai=-Ai
v_mfma_f64_4x4x4f64 v[0+0:1+0], v[vgprValuB_X1_I0+0+0+0:vgprValuB_X1_I0+0+0+0+1], v[vgprValuA_X1_I0+0+0+0:vgprValuA_X1_I0+0+0+0+1], v[0:1]
 // Cr += Ar*Br
/*  mfmaIndex:5  */
/* localReadsVacancy: latencyLeft 1 */
_ds_load_b128 v[vgprValuA_X3_I0+0:vgprValuA_X3_I0+0+3], v[vgprLocalReadAddrA] offset:192 // L -> Reg lro=12 swapByteOffset=0 ti=8 vIdx=0 rIdx=0 oIdx=0 buffer=3 iui=0
s_cmp_eq_u32 s[sgprShadowLimitA+1], 0              // are we within 2^32?
v_mfma_f64_4x4x4f64 v[2+0:3+0], v[vgprValuB_X1_I0+0+0+0:vgprValuB_X1_I0+0+0+0+1], v[108:109], v[2:3]
 // Ci += -Ai*Br
/*  mfmaIndex:6  */
/* localReadsVacancy: latencyLeft 1 */
_ds_load_b128 v[vgprValuB_X3_I0+0:vgprValuB_X3_I0+0+3], v[vgprLocalReadAddrB] offset:192 // L -> Reg lro=12 swapByteOffset=0 ti=8 vIdx=0 rIdx=0 oIdx=0 buffer=3 iui=0
s_cmov_b32 s[sgprSrdA+2], s[sgprShadowLimitA+0]    // Move shadow to real if we are within 2^32
v_mfma_f64_4x4x4f64 v[0+0:1+0], v[vgprValuB_X1_I0+0+0+0+2:vgprValuB_X1_I0+0+0+0+2+1], v[vgprValuA_X1_I0+0+0+0+2:vgprValuA_X1_I0+0+0+0+2+1], v[0:1]
 // Cr += Ai*Bi
/*  mfmaIndex:7  */
/* localReadsVacancy: latencyLeft 1 */
_ds_load_b128 v[vgprValuA_X4_I0+0:vgprValuA_X4_I0+0+3], v[vgprLocalReadAddrA] offset:256 // L -> Reg lro=16 swapByteOffset=0 ti=8 vIdx=0 rIdx=0 oIdx=0 buffer=4 iui=0

/* global read inc B loopL */
s_add_u32 s[sgprSrdB+0], s[sgprSrdB+0], s[sgprGlobalReadIncsB+0] // gra SRD += inc(lower)
v_mfma_f64_4x4x4f64 v[2+0:3+0], v[vgprValuB_X1_I0+0+0+0+2:vgprValuB_X1_I0+0+0+0+2+1], v[vgprValuA_X1_I0+0+0+0:vgprValuA_X1_I0+0+0+0+1], v[2:3]
 // Ci += Ar*Bi
/* numPrefetchIter=0 */
/* dataAtIterA=0 numReadsIterA=2 skipReadsIterA=1 readsPerIterA=1 */
/* dataAtIterB=0 numReadsIterB=2 skipReadsIterB=1 readsPerIterB=1 */


/* iter 2 */

/*  grEndMfmaIndex:12, lwStartMfmaIndex:14, lwEndMfmaIndex:23  */
/*  numMfmaForLR:3, barrierMfmaIndex:28, LocalWritePerMfma:0.800 */
/*  mfmaIndex:8  */
/* localReadsVacancy: latencyLeft 1 */
_ds_load_b128 v[vgprValuB_X4_I0+0:vgprValuB_X4_I0+0+3], v[vgprLocalReadAddrB] offset:256 // L -> Reg lro=16 swapByteOffset=0 ti=8 vIdx=0 rIdx=0 oIdx=0 buffer=4 iui=0
s_addc_u32  s[sgprSrdB+1], s[sgprSrdB+1], 0        // gra SRD += inc(upper)
s_waitcnt lgkmcnt(4)                               // lgkmcnt=0 vmcnt=-1wait for prior local read local write old=2, new=2 newLW=0 newLR=0
v_add_f64 v[108:109], -v[vgprValuA_X2_I0+0+0+0+2:vgprValuA_X2_I0+0+0+0+2+1], 0 // Ai=-Ai
v_mfma_f64_4x4x4f64 v[0+0:1+0], v[vgprValuB_X2_I0+0+0+0:vgprValuB_X2_I0+0+0+0+1], v[vgprValuA_X2_I0+0+0+0:vgprValuA_X2_I0+0+0+0+1], v[0:1]
 // Cr += Ar*Br
/*  mfmaIndex:9  */
/* localReadsVacancy: latencyLeft 1 */
_ds_load_b128 v[vgprValuA_X5_I0+0:vgprValuA_X5_I0+0+3], v[vgprLocalReadAddrA] offset:320 // L -> Reg lro=20 swapByteOffset=0 ti=8 vIdx=0 rIdx=0 oIdx=0 buffer=5 iui=0
s_sub_u32 s[sgprShadowLimitB+0], s[sgprShadowLimitB+0], s[sgprGlobalReadIncsB+0] // limit -= inc)
v_mfma_f64_4x4x4f64 v[2+0:3+0], v[vgprValuB_X2_I0+0+0+0:vgprValuB_X2_I0+0+0+0+1], v[108:109], v[2:3]
 // Ci += -Ai*Br
/*  mfmaIndex:10  */
/* localReadsVacancy: latencyLeft 1 */
_ds_load_b128 v[vgprValuB_X5_I0+0:vgprValuB_X5_I0+0+3], v[vgprLocalReadAddrB] offset:320 // L -> Reg lro=20 swapByteOffset=0 ti=8 vIdx=0 rIdx=0 oIdx=0 buffer=5 iui=0
s_subb_u32 s[sgprShadowLimitB+1], s[sgprShadowLimitB+1], 0 // limit -= inc)
v_mfma_f64_4x4x4f64 v[0+0:1+0], v[vgprValuB_X2_I0+0+0+0+2:vgprValuB_X2_I0+0+0+0+2+1], v[vgprValuA_X2_I0+0+0+0+2:vgprValuA_X2_I0+0+0+0+2+1], v[0:1]
 // Cr += Ai*Bi
/*  mfmaIndex:11  */
/* localReadsVacancy: latencyLeft 1 */
_ds_load_b128 v[vgprValuA_X6_I0+0:vgprValuA_X6_I0+0+3], v[vgprLocalReadAddrA] offset:384 // L -> Reg lro=24 swapByteOffset=0 ti=8 vIdx=0 rIdx=0 oIdx=0 buffer=6 iui=0
s_cmp_eq_u32 s[sgprShadowLimitB+1], 0              // are we within 2^32?
v_mfma_f64_4x4x4f64 v[2+0:3+0], v[vgprValuB_X2_I0+0+0+0+2:vgprValuB_X2_I0+0+0+0+2+1], v[vgprValuA_X2_I0+0+0+0:vgprValuA_X2_I0+0+0+0+1], v[2:3]
 // Ci += Ar*Bi
/* numPrefetchIter=0 */
/* dataAtIterA=1 numReadsIterA=3 skipReadsIterA=1 readsPerIterA=1 */
/* dataAtIterB=1 numReadsIterB=3 skipReadsIterB=1 readsPerIterB=1 */


/* iter 3 */

/*  grEndMfmaIndex:12, lwStartMfmaIndex:14, lwEndMfmaIndex:23  */
/*  numMfmaForLR:3, barrierMfmaIndex:28, LocalWritePerMfma:0.800 */
/*  mfmaIndex:12  */
/* localReadsVacancy: latencyLeft 1 */
_ds_load_b128 v[vgprValuB_X6_I0+0:vgprValuB_X6_I0+0+3], v[vgprLocalReadAddrB] offset:384 // L -> Reg lro=24 swapByteOffset=0 ti=8 vIdx=0 rIdx=0 oIdx=0 buffer=6 iui=0
s_cmov_b32 s[sgprSrdB+2], s[sgprShadowLimitB+0]    // Move shadow to real if we are within 2^32
s_waitcnt lgkmcnt(5)                               // lgkmcnt=0 vmcnt=-1wait for prior local read local write old=1, new=1 newLW=0 newLR=0
v_add_f64 v[108:109], -v[vgprValuA_X3_I0+0+0+0+2:vgprValuA_X3_I0+0+0+0+2+1], 0 // Ai=-Ai
v_mfma_f64_4x4x4f64 v[0+0:1+0], v[vgprValuB_X3_I0+0+0+0:vgprValuB_X3_I0+0+0+0+1], v[vgprValuA_X3_I0+0+0+0:vgprValuA_X3_I0+0+0+0+1], v[0:1]
 // Cr += Ar*Br
/*  mfmaIndex:13  */
/* localReadsVacancy: latencyLeft 1 */
_ds_load_b128 v[vgprValuA_X7_I0+0:vgprValuA_X7_I0+0+3], v[vgprLocalReadAddrA] offset:448 // L -> Reg lro=28 swapByteOffset=0 ti=8 vIdx=0 rIdx=0 oIdx=0 buffer=7 iui=0
v_mfma_f64_4x4x4f64 v[2+0:3+0], v[vgprValuB_X3_I0+0+0+0:vgprValuB_X3_I0+0+0+0+1], v[108:109], v[2:3]
 // Ci += -Ai*Br
/*  mfmaIndex:14  */
/* sched write - iter 3 writesPerItem=1 */
s_waitcnt vmcnt(0)                                 // lgkmcnt=-1 vmcnt=0wait for global read before writing to local
_ds_store_b128 v[vgprLocalWriteAddrA], v[vgprG2LA+0:vgprG2LA+0+3] offset:0 // lwoA_0_0_0_0 = (0*LSCA)*(MT0I+PAD) + (0*LSPA) = 0
v_mfma_f64_4x4x4f64 v[0+0:1+0], v[vgprValuB_X3_I0+0+0+0+2:vgprValuB_X3_I0+0+0+0+2+1], v[vgprValuA_X3_I0+0+0+0+2:vgprValuA_X3_I0+0+0+0+2+1], v[0:1]
 // Cr += Ai*Bi
/*  mfmaIndex:15  */
/* sched write - iter 3 writesPerItem=1 */
s_waitcnt vmcnt(0)                                 // lgkmcnt=-1 vmcnt=0wait for global read before writing to local
_ds_store_b128 v[vgprLocalWriteAddrA], v[vgprG2LA+4:vgprG2LA+4+3] offset:1056 // lwoA_0_0_1_0 = (0*LSCA)*(MT0I+PAD) + (1*LSPA) = 1056
v_mfma_f64_4x4x4f64 v[2+0:3+0], v[vgprValuB_X3_I0+0+0+0+2:vgprValuB_X3_I0+0+0+0+2+1], v[vgprValuA_X3_I0+0+0+0:vgprValuA_X3_I0+0+0+0+1], v[2:3]
 // Ci += Ar*Bi
/* numPrefetchIter=0 */
/* dataAtIterA=2 numReadsIterA=4 skipReadsIterA=1 readsPerIterA=1 */
/* dataAtIterB=2 numReadsIterB=4 skipReadsIterB=1 readsPerIterB=1 */


/* iter 4 */

/*  grEndMfmaIndex:12, lwStartMfmaIndex:14, lwEndMfmaIndex:23  */
/*  numMfmaForLR:3, barrierMfmaIndex:28, LocalWritePerMfma:0.800 */
/*  mfmaIndex:16  */
/* sched write - iter 4 writesPerItem=1 */
s_waitcnt vmcnt(0)                                 // lgkmcnt=-1 vmcnt=0wait for global read before writing to local
_ds_store_b128 v[vgprLocalWriteAddrA], v[vgprG2LA+8:vgprG2LA+8+3] offset:2112 // lwoA_0_0_2_0 = (0*LSCA)*(MT0I+PAD) + (2*LSPA) = 2112
s_waitcnt lgkmcnt(8)                               // lgkmcnt=0 vmcnt=-1wait for prior local read local write old=2, new=5 newLW=3 newLR=0
v_add_f64 v[108:109], -v[vgprValuA_X4_I0+0+0+0+2:vgprValuA_X4_I0+0+0+0+2+1], 0 // Ai=-Ai
v_mfma_f64_4x4x4f64 v[0+0:1+0], v[vgprValuB_X4_I0+0+0+0:vgprValuB_X4_I0+0+0+0+1], v[vgprValuA_X4_I0+0+0+0:vgprValuA_X4_I0+0+0+0+1], v[0:1]
 // Cr += Ar*Br
/*  mfmaIndex:17  */
/* sched write - iter 4 writesPerItem=1 */
s_waitcnt vmcnt(0)                                 // lgkmcnt=-1 vmcnt=0wait for global read before writing to local
_ds_store_b128 v[vgprLocalWriteAddrA], v[vgprG2LA+12:vgprG2LA+12+3] offset:3168 // lwoA_0_0_3_0 = (0*LSCA)*(MT0I+PAD) + (3*LSPA) = 3168
v_mfma_f64_4x4x4f64 v[2+0:3+0], v[vgprValuB_X4_I0+0+0+0:vgprValuB_X4_I0+0+0+0+1], v[108:109], v[2:3]
 // Ci += -Ai*Br
/*  mfmaIndex:18  */
/* localReadsVacancy: latencyLeft 1 */
_ds_load_b128 v[vgprValuB_X7_I0+0:vgprValuB_X7_I0+0+3], v[vgprLocalReadAddrB] offset:448 // L -> Reg lro=28 swapByteOffset=0 ti=8 vIdx=0 rIdx=0 oIdx=0 buffer=7 iui=0
v_mfma_f64_4x4x4f64 v[0+0:1+0], v[vgprValuB_X4_I0+0+0+0+2:vgprValuB_X4_I0+0+0+0+2+1], v[vgprValuA_X4_I0+0+0+0+2:vgprValuA_X4_I0+0+0+0+2+1], v[0:1]
 // Cr += Ai*Bi
/*  mfmaIndex:19  */
/* sched write - iter 4 writesPerItem=1 */
s_waitcnt vmcnt(0)                                 // lgkmcnt=-1 vmcnt=0wait for global read before writing to local
_ds_store_b128 v[vgprLocalWriteAddrB], v[vgprG2LB+0:vgprG2LB+0+3] offset:0 // lwoB_0_0_0_0 = (0*LSCB)*(MT1J+PAD) + (0*LSPB) = 0
v_mfma_f64_4x4x4f64 v[2+0:3+0], v[vgprValuB_X4_I0+0+0+0+2:vgprValuB_X4_I0+0+0+0+2+1], v[vgprValuA_X4_I0+0+0+0:vgprValuA_X4_I0+0+0+0+1], v[2:3]
 // Ci += Ar*Bi
/* numPrefetchIter=0 */
/* dataAtIterA=3 numReadsIterA=5 skipReadsIterA=1 readsPerIterA=1 */
/* dataAtIterB=3 numReadsIterB=5 skipReadsIterB=1 readsPerIterB=1 */


/* iter 5 (swap and reset local write pointers iteration)  */

/*  grEndMfmaIndex:12, lwStartMfmaIndex:14, lwEndMfmaIndex:23  */
/*  numMfmaForLR:3, barrierMfmaIndex:28, LocalWritePerMfma:0.800 */
/*  mfmaIndex:20  */
/* sched write - iter 5 writesPerItem=1 */
s_waitcnt vmcnt(0)                                 // lgkmcnt=-1 vmcnt=0wait for global read before writing to local
_ds_store_b128 v[vgprLocalWriteAddrB], v[vgprG2LB+4:vgprG2LB+4+3] offset:1056 // lwoB_0_0_1_0 = (0*LSCB)*(MT1J+PAD) + (1*LSPB) = 1056
s_waitcnt lgkmcnt(8)                               // lgkmcnt=0 vmcnt=-1wait for prior local read local write old=2, new=6 newLW=4 newLR=0
v_add_f64 v[108:109], -v[vgprValuA_X5_I0+0+0+0+2:vgprValuA_X5_I0+0+0+0+2+1], 0 // Ai=-Ai
v_mfma_f64_4x4x4f64 v[0+0:1+0], v[vgprValuB_X5_I0+0+0+0:vgprValuB_X5_I0+0+0+0+1], v[vgprValuA_X5_I0+0+0+0:vgprValuA_X5_I0+0+0+0+1], v[0:1]
 // Cr += Ar*Br
/*  mfmaIndex:21  */
/* sched write - iter 5 writesPerItem=1 */
s_waitcnt vmcnt(0)                                 // lgkmcnt=-1 vmcnt=0wait for global read before writing to local
_ds_store_b128 v[vgprLocalWriteAddrB], v[vgprG2LB+8:vgprG2LB+8+3] offset:2112 // lwoB_0_0_2_0 = (0*LSCB)*(MT1J+PAD) + (2*LSPB) = 2112
v_mfma_f64_4x4x4f64 v[2+0:3+0], v[vgprValuB_X5_I0+0+0+0:vgprValuB_X5_I0+0+0+0+1], v[108:109], v[2:3]
 // Ci += -Ai*Br
/*  mfmaIndex:22  */
/* sched write - iter 5 writesPerItem=1 */
s_waitcnt vmcnt(0)                                 // lgkmcnt=-1 vmcnt=0wait for global read before writing to local
_ds_store_b128 v[vgprLocalWriteAddrB], v[vgprG2LB+12:vgprG2LB+12+3] offset:3168 // lwoB_0_0_3_0 = (0*LSCB)*(MT1J+PAD) + (3*LSPB) = 3168
v_mfma_f64_4x4x4f64 v[0+0:1+0], v[vgprValuB_X5_I0+0+0+0+2:vgprValuB_X5_I0+0+0+0+2+1], v[vgprValuA_X5_I0+0+0+0+2:vgprValuA_X5_I0+0+0+0+2+1], v[0:1]
 // Cr += Ai*Bi
/*  mfmaIndex:23  */
/* localReadsVacancy: latencyLeft 1 */

/* local write swap offsets a */

/* (EPS=1) local write swap internal offset -> 16384 */

/* local write swap offsets b */

/* (EPS=1) local write swap internal offset -> 16384 */
v_mfma_f64_4x4x4f64 v[2+0:3+0], v[vgprValuB_X5_I0+0+0+0+2:vgprValuB_X5_I0+0+0+0+2+1], v[vgprValuA_X5_I0+0+0+0:vgprValuA_X5_I0+0+0+0+1], v[2:3]
 // Ci += Ar*Bi
/* numPrefetchIter=0 */
/* dataAtIterA=4 numReadsIterA=6 skipReadsIterA=1 readsPerIterA=1 */
/* dataAtIterB=4 numReadsIterB=6 skipReadsIterB=1 readsPerIterB=1 */


/* iter 6 (reset local read pointers iteration)  (swap local read pointers iteration)  */

/*  grEndMfmaIndex:12, lwStartMfmaIndex:14, lwEndMfmaIndex:23  */
/*  numMfmaForLR:3, barrierMfmaIndex:28, LocalWritePerMfma:0.800 */
/*  mfmaIndex:24  */
/* localReadsVacancy: latencyLeft 1 */
s_waitcnt lgkmcnt(5)                               // lgkmcnt=0 vmcnt=-1wait for prior local read local write old=2, new=5 newLW=3 newLR=0
v_add_f64 v[108:109], -v[vgprValuA_X6_I0+0+0+0+2:vgprValuA_X6_I0+0+0+0+2+1], 0 // Ai=-Ai
v_mfma_f64_4x4x4f64 v[0+0:1+0], v[vgprValuB_X6_I0+0+0+0:vgprValuB_X6_I0+0+0+0+1], v[vgprValuA_X6_I0+0+0+0:vgprValuA_X6_I0+0+0+0+1], v[0:1]
 // Cr += Ar*Br
/*  mfmaIndex:25  */
/* localReadsVacancy: latencyLeft 1 */
v_mfma_f64_4x4x4f64 v[2+0:3+0], v[vgprValuB_X6_I0+0+0+0:vgprValuB_X6_I0+0+0+0+1], v[108:109], v[2:3]
 // Ci += -Ai*Br
/*  mfmaIndex:26  */
/* localReadsVacancy: latencyLeft 1 */
v_mfma_f64_4x4x4f64 v[0+0:1+0], v[vgprValuB_X6_I0+0+0+0+2:vgprValuB_X6_I0+0+0+0+2+1], v[vgprValuA_X6_I0+0+0+0+2:vgprValuA_X6_I0+0+0+0+2+1], v[0:1]
 // Cr += Ai*Bi
/*  mfmaIndex:27  */
/* localReadsVacancy: latencyLeft 1 */

/* local read swap offsets a */
v_xor_b32 v[vgprLocalReadAddrA], 0x4000, v[vgprLocalReadAddrA] // swap Red Blk

/* local read swap offsets b */
v_xor_b32 v[vgprLocalReadAddrB], 0x4000, v[vgprLocalReadAddrB] // swap Red Blk

/* local read init pointers a */

/* localReadInitPointers */

/* local read init pointers b */

/* localReadInitPointers */
v_mfma_f64_4x4x4f64 v[2+0:3+0], v[vgprValuB_X6_I0+0+0+0+2:vgprValuB_X6_I0+0+0+0+2+1], v[vgprValuA_X6_I0+0+0+0:vgprValuA_X6_I0+0+0+0+1], v[2:3]
 // Ci += Ar*Bi
/* numPrefetchIter=0 */
/* dataAtIterA=5 numReadsIterA=7 skipReadsIterA=1 readsPerIterA=1 */
/* dataAtIterB=5 numReadsIterB=7 skipReadsIterB=1 readsPerIterB=1 */


/* iter 7 */

/*  grEndMfmaIndex:12, lwStartMfmaIndex:14, lwEndMfmaIndex:23  */
/*  numMfmaForLR:3, barrierMfmaIndex:28, LocalWritePerMfma:0.800 */
/*  mfmaIndex:28  */
s_waitcnt lgkmcnt(0)                               // lgkmcnt=0 vmcnt=-13wait for local write
// Skip barrier: NumThreads=64
s_waitcnt lgkmcnt(0)                               // lgkmcnt=0 vmcnt=-1wait for prior local read local write old=0, new=0 newLW=0 newLR=0
v_add_f64 v[108:109], -v[vgprValuA_X7_I0+0+0+0+2:vgprValuA_X7_I0+0+0+0+2+1], 0 // Ai=-Ai
v_mfma_f64_4x4x4f64 v[0+0:1+0], v[vgprValuB_X7_I0+0+0+0:vgprValuB_X7_I0+0+0+0+1], v[vgprValuA_X7_I0+0+0+0:vgprValuA_X7_I0+0+0+0+1], v[0:1]
 // Cr += Ar*Br
/*  mfmaIndex:29  */
_ds_load_b128 v[vgprValuA_X0_I0+0:vgprValuA_X0_I0+0+3], v[vgprLocalReadAddrA] offset:0 // L -> Reg lro=0 swapByteOffset=0 ti=8 vIdx=0 rIdx=0 oIdx=0 buffer=0 iui=0
v_mfma_f64_4x4x4f64 v[2+0:3+0], v[vgprValuB_X7_I0+0+0+0:vgprValuB_X7_I0+0+0+0+1], v[108:109], v[2:3]
 // Ci += -Ai*Br
/*  mfmaIndex:30  */
_ds_load_b128 v[vgprValuB_X0_I0+0:vgprValuB_X0_I0+0+3], v[vgprLocalReadAddrB] offset:0 // L -> Reg lro=0 swapByteOffset=0 ti=8 vIdx=0 rIdx=0 oIdx=0 buffer=0 iui=0
v_mfma_f64_4x4x4f64 v[0+0:1+0], v[vgprValuB_X7_I0+0+0+0+2:vgprValuB_X7_I0+0+0+0+2+1], v[vgprValuA_X7_I0+0+0+0+2:vgprValuA_X7_I0+0+0+0+2+1], v[0:1]
 // Cr += Ai*Bi
/*  mfmaIndex:31  */
v_mfma_f64_4x4x4f64 v[2+0:3+0], v[vgprValuB_X7_I0+0+0+0+2:vgprValuB_X7_I0+0+0+0+2+1], v[vgprValuA_X7_I0+0+0+0:vgprValuA_X7_I0+0+0+0+1], v[2:3]
 // Ci += Ar*Bi
/* numPrefetchIter=1 */
/* dataAtIterA=6 numReadsIterA=7 skipReadsIterA=1 readsPerIterA=1 */
/* dataAtIterB=6 numReadsIterB=7 skipReadsIterB=1 readsPerIterB=1 */

label_0014:


/******************************************/
/* Ord. NoLoadLoop - Begin                                      */
/******************************************/


	;; [unrolled: 1-line block ×4, first 2 shown]
/* iter 0 (last unrolled loop) */

/*  grEndMfmaIndex:0, lwStartMfmaIndex:23, lwEndMfmaIndex:23  */
/*  numMfmaForLR:3, barrierMfmaIndex:28, LocalWritePerMfma:0.800 */
/*  mfmaIndex:0  */
s_waitcnt lgkmcnt(0)                               // lgkmcnt=0 vmcnt=-1wait for prior local read local write old=0, new=0 newLW=0 newLR=0
v_add_f64 v[108:109], -v[vgprValuA_X0_I0+0+0+0+2:vgprValuA_X0_I0+0+0+0+2+1], 0 // Ai=-Ai
v_mfma_f64_4x4x4f64 v[0+0:1+0], v[vgprValuB_X0_I0+0+0+0:vgprValuB_X0_I0+0+0+0+1], v[vgprValuA_X0_I0+0+0+0:vgprValuA_X0_I0+0+0+0+1], v[0:1]
 // Cr += Ar*Br
/*  mfmaIndex:1  */
_ds_load_b128 v[vgprValuA_X1_I0+0:vgprValuA_X1_I0+0+3], v[vgprLocalReadAddrA] offset:64 // L -> Reg lro=4 swapByteOffset=0 ti=8 vIdx=0 rIdx=0 oIdx=0 buffer=1 iui=0
v_mfma_f64_4x4x4f64 v[2+0:3+0], v[vgprValuB_X0_I0+0+0+0:vgprValuB_X0_I0+0+0+0+1], v[108:109], v[2:3]
 // Ci += -Ai*Br
/*  mfmaIndex:2  */
_ds_load_b128 v[vgprValuB_X1_I0+0:vgprValuB_X1_I0+0+3], v[vgprLocalReadAddrB] offset:64 // L -> Reg lro=4 swapByteOffset=0 ti=8 vIdx=0 rIdx=0 oIdx=0 buffer=1 iui=0
v_mfma_f64_4x4x4f64 v[0+0:1+0], v[vgprValuB_X0_I0+0+0+0+2:vgprValuB_X0_I0+0+0+0+2+1], v[vgprValuA_X0_I0+0+0+0+2:vgprValuA_X0_I0+0+0+0+2+1], v[0:1]
 // Cr += Ai*Bi
/*  mfmaIndex:3  */
/* localReadsVacancy: latencyLeft 1 */
_ds_load_b128 v[vgprValuA_X2_I0+0:vgprValuA_X2_I0+0+3], v[vgprLocalReadAddrA] offset:128 // L -> Reg lro=8 swapByteOffset=0 ti=8 vIdx=0 rIdx=0 oIdx=0 buffer=2 iui=0
v_mfma_f64_4x4x4f64 v[2+0:3+0], v[vgprValuB_X0_I0+0+0+0+2:vgprValuB_X0_I0+0+0+0+2+1], v[vgprValuA_X0_I0+0+0+0:vgprValuA_X0_I0+0+0+0+1], v[2:3]
 // Ci += Ar*Bi
/* numPrefetchIter=0 */
/* dataAtIterA=-1 numReadsIterA=1 skipReadsIterA=1 readsPerIterA=1 */
/* dataAtIterB=-1 numReadsIterB=1 skipReadsIterB=1 readsPerIterB=1 */


/* iter 1 (last unrolled loop) */

/*  grEndMfmaIndex:0, lwStartMfmaIndex:23, lwEndMfmaIndex:23  */
/*  numMfmaForLR:3, barrierMfmaIndex:28, LocalWritePerMfma:0.800 */
/*  mfmaIndex:4  */
_ds_load_b128 v[vgprValuB_X2_I0+0:vgprValuB_X2_I0+0+3], v[vgprLocalReadAddrB] offset:128 // L -> Reg lro=8 swapByteOffset=0 ti=8 vIdx=0 rIdx=0 oIdx=0 buffer=2 iui=0
s_waitcnt lgkmcnt(2)                               // lgkmcnt=0 vmcnt=-1wait for prior local read local write old=1, new=2 newLW=0 newLR=1
v_add_f64 v[108:109], -v[vgprValuA_X1_I0+0+0+0+2:vgprValuA_X1_I0+0+0+0+2+1], 0 // Ai=-Ai
v_mfma_f64_4x4x4f64 v[0+0:1+0], v[vgprValuB_X1_I0+0+0+0:vgprValuB_X1_I0+0+0+0+1], v[vgprValuA_X1_I0+0+0+0:vgprValuA_X1_I0+0+0+0+1], v[0:1]
 // Cr += Ar*Br
/*  mfmaIndex:5  */
/* localReadsVacancy: latencyLeft 1 */
_ds_load_b128 v[vgprValuA_X3_I0+0:vgprValuA_X3_I0+0+3], v[vgprLocalReadAddrA] offset:192 // L -> Reg lro=12 swapByteOffset=0 ti=8 vIdx=0 rIdx=0 oIdx=0 buffer=3 iui=0
v_mfma_f64_4x4x4f64 v[2+0:3+0], v[vgprValuB_X1_I0+0+0+0:vgprValuB_X1_I0+0+0+0+1], v[108:109], v[2:3]
 // Ci += -Ai*Br
/*  mfmaIndex:6  */
/* localReadsVacancy: latencyLeft 1 */
_ds_load_b128 v[vgprValuB_X3_I0+0:vgprValuB_X3_I0+0+3], v[vgprLocalReadAddrB] offset:192 // L -> Reg lro=12 swapByteOffset=0 ti=8 vIdx=0 rIdx=0 oIdx=0 buffer=3 iui=0
v_mfma_f64_4x4x4f64 v[0+0:1+0], v[vgprValuB_X1_I0+0+0+0+2:vgprValuB_X1_I0+0+0+0+2+1], v[vgprValuA_X1_I0+0+0+0+2:vgprValuA_X1_I0+0+0+0+2+1], v[0:1]
 // Cr += Ai*Bi
/*  mfmaIndex:7  */
/* localReadsVacancy: latencyLeft 1 */
_ds_load_b128 v[vgprValuA_X4_I0+0:vgprValuA_X4_I0+0+3], v[vgprLocalReadAddrA] offset:256 // L -> Reg lro=16 swapByteOffset=0 ti=8 vIdx=0 rIdx=0 oIdx=0 buffer=4 iui=0
v_mfma_f64_4x4x4f64 v[2+0:3+0], v[vgprValuB_X1_I0+0+0+0+2:vgprValuB_X1_I0+0+0+0+2+1], v[vgprValuA_X1_I0+0+0+0:vgprValuA_X1_I0+0+0+0+1], v[2:3]
 // Ci += Ar*Bi
/* numPrefetchIter=0 */
/* dataAtIterA=0 numReadsIterA=2 skipReadsIterA=1 readsPerIterA=1 */
/* dataAtIterB=0 numReadsIterB=2 skipReadsIterB=1 readsPerIterB=1 */


/* iter 2 (last unrolled loop) */

/*  grEndMfmaIndex:0, lwStartMfmaIndex:23, lwEndMfmaIndex:23  */
/*  numMfmaForLR:3, barrierMfmaIndex:28, LocalWritePerMfma:0.800 */
/*  mfmaIndex:8  */
/* localReadsVacancy: latencyLeft 1 */
_ds_load_b128 v[vgprValuB_X4_I0+0:vgprValuB_X4_I0+0+3], v[vgprLocalReadAddrB] offset:256 // L -> Reg lro=16 swapByteOffset=0 ti=8 vIdx=0 rIdx=0 oIdx=0 buffer=4 iui=0
s_waitcnt lgkmcnt(4)                               // lgkmcnt=0 vmcnt=-1wait for prior local read local write old=2, new=2 newLW=0 newLR=0
v_add_f64 v[108:109], -v[vgprValuA_X2_I0+0+0+0+2:vgprValuA_X2_I0+0+0+0+2+1], 0 // Ai=-Ai
v_mfma_f64_4x4x4f64 v[0+0:1+0], v[vgprValuB_X2_I0+0+0+0:vgprValuB_X2_I0+0+0+0+1], v[vgprValuA_X2_I0+0+0+0:vgprValuA_X2_I0+0+0+0+1], v[0:1]
 // Cr += Ar*Br
/*  mfmaIndex:9  */
/* localReadsVacancy: latencyLeft 1 */
_ds_load_b128 v[vgprValuA_X5_I0+0:vgprValuA_X5_I0+0+3], v[vgprLocalReadAddrA] offset:320 // L -> Reg lro=20 swapByteOffset=0 ti=8 vIdx=0 rIdx=0 oIdx=0 buffer=5 iui=0
v_mfma_f64_4x4x4f64 v[2+0:3+0], v[vgprValuB_X2_I0+0+0+0:vgprValuB_X2_I0+0+0+0+1], v[108:109], v[2:3]
 // Ci += -Ai*Br
/*  mfmaIndex:10  */
/* localReadsVacancy: latencyLeft 1 */
_ds_load_b128 v[vgprValuB_X5_I0+0:vgprValuB_X5_I0+0+3], v[vgprLocalReadAddrB] offset:320 // L -> Reg lro=20 swapByteOffset=0 ti=8 vIdx=0 rIdx=0 oIdx=0 buffer=5 iui=0
v_mfma_f64_4x4x4f64 v[0+0:1+0], v[vgprValuB_X2_I0+0+0+0+2:vgprValuB_X2_I0+0+0+0+2+1], v[vgprValuA_X2_I0+0+0+0+2:vgprValuA_X2_I0+0+0+0+2+1], v[0:1]
 // Cr += Ai*Bi
/*  mfmaIndex:11  */
/* localReadsVacancy: latencyLeft 1 */
_ds_load_b128 v[vgprValuA_X6_I0+0:vgprValuA_X6_I0+0+3], v[vgprLocalReadAddrA] offset:384 // L -> Reg lro=24 swapByteOffset=0 ti=8 vIdx=0 rIdx=0 oIdx=0 buffer=6 iui=0
v_mfma_f64_4x4x4f64 v[2+0:3+0], v[vgprValuB_X2_I0+0+0+0+2:vgprValuB_X2_I0+0+0+0+2+1], v[vgprValuA_X2_I0+0+0+0:vgprValuA_X2_I0+0+0+0+1], v[2:3]
 // Ci += Ar*Bi
/* numPrefetchIter=0 */
/* dataAtIterA=1 numReadsIterA=3 skipReadsIterA=1 readsPerIterA=1 */
/* dataAtIterB=1 numReadsIterB=3 skipReadsIterB=1 readsPerIterB=1 */


/* iter 3 (last unrolled loop) */

/*  grEndMfmaIndex:0, lwStartMfmaIndex:23, lwEndMfmaIndex:23  */
/*  numMfmaForLR:3, barrierMfmaIndex:28, LocalWritePerMfma:0.800 */
/*  mfmaIndex:12  */
/* localReadsVacancy: latencyLeft 1 */
_ds_load_b128 v[vgprValuB_X6_I0+0:vgprValuB_X6_I0+0+3], v[vgprLocalReadAddrB] offset:384 // L -> Reg lro=24 swapByteOffset=0 ti=8 vIdx=0 rIdx=0 oIdx=0 buffer=6 iui=0
s_waitcnt lgkmcnt(5)                               // lgkmcnt=0 vmcnt=-1wait for prior local read local write old=1, new=1 newLW=0 newLR=0
v_add_f64 v[108:109], -v[vgprValuA_X3_I0+0+0+0+2:vgprValuA_X3_I0+0+0+0+2+1], 0 // Ai=-Ai
v_mfma_f64_4x4x4f64 v[0+0:1+0], v[vgprValuB_X3_I0+0+0+0:vgprValuB_X3_I0+0+0+0+1], v[vgprValuA_X3_I0+0+0+0:vgprValuA_X3_I0+0+0+0+1], v[0:1]
 // Cr += Ar*Br
/*  mfmaIndex:13  */
/* localReadsVacancy: latencyLeft 1 */
_ds_load_b128 v[vgprValuA_X7_I0+0:vgprValuA_X7_I0+0+3], v[vgprLocalReadAddrA] offset:448 // L -> Reg lro=28 swapByteOffset=0 ti=8 vIdx=0 rIdx=0 oIdx=0 buffer=7 iui=0
v_mfma_f64_4x4x4f64 v[2+0:3+0], v[vgprValuB_X3_I0+0+0+0:vgprValuB_X3_I0+0+0+0+1], v[108:109], v[2:3]
 // Ci += -Ai*Br
/*  mfmaIndex:14  */
/* localReadsVacancy: latencyLeft 1 */
_ds_load_b128 v[vgprValuB_X7_I0+0:vgprValuB_X7_I0+0+3], v[vgprLocalReadAddrB] offset:448 // L -> Reg lro=28 swapByteOffset=0 ti=8 vIdx=0 rIdx=0 oIdx=0 buffer=7 iui=0
v_mfma_f64_4x4x4f64 v[0+0:1+0], v[vgprValuB_X3_I0+0+0+0+2:vgprValuB_X3_I0+0+0+0+2+1], v[vgprValuA_X3_I0+0+0+0+2:vgprValuA_X3_I0+0+0+0+2+1], v[0:1]
 // Cr += Ai*Bi
/*  mfmaIndex:15  */
/* localReadsVacancy: latencyLeft 1 */
v_mfma_f64_4x4x4f64 v[2+0:3+0], v[vgprValuB_X3_I0+0+0+0+2:vgprValuB_X3_I0+0+0+0+2+1], v[vgprValuA_X3_I0+0+0+0:vgprValuA_X3_I0+0+0+0+1], v[2:3]
 // Ci += Ar*Bi
/* numPrefetchIter=0 */
/* dataAtIterA=2 numReadsIterA=4 skipReadsIterA=1 readsPerIterA=1 */
/* dataAtIterB=2 numReadsIterB=4 skipReadsIterB=1 readsPerIterB=1 */


/* iter 4 (last unrolled loop) */

/*  grEndMfmaIndex:0, lwStartMfmaIndex:23, lwEndMfmaIndex:23  */
/*  numMfmaForLR:3, barrierMfmaIndex:28, LocalWritePerMfma:0.800 */
/*  mfmaIndex:16  */
/* localReadsVacancy: latencyLeft 1 */
s_waitcnt lgkmcnt(6)                               // lgkmcnt=0 vmcnt=-1wait for prior local read local write old=2, new=2 newLW=0 newLR=0
v_add_f64 v[108:109], -v[vgprValuA_X4_I0+0+0+0+2:vgprValuA_X4_I0+0+0+0+2+1], 0 // Ai=-Ai
v_mfma_f64_4x4x4f64 v[0+0:1+0], v[vgprValuB_X4_I0+0+0+0:vgprValuB_X4_I0+0+0+0+1], v[vgprValuA_X4_I0+0+0+0:vgprValuA_X4_I0+0+0+0+1], v[0:1]
 // Cr += Ar*Br
/*  mfmaIndex:17  */
/* localReadsVacancy: latencyLeft 1 */
v_mfma_f64_4x4x4f64 v[2+0:3+0], v[vgprValuB_X4_I0+0+0+0:vgprValuB_X4_I0+0+0+0+1], v[108:109], v[2:3]
 // Ci += -Ai*Br
/*  mfmaIndex:18  */
/* localReadsVacancy: latencyLeft 1 */
v_mfma_f64_4x4x4f64 v[0+0:1+0], v[vgprValuB_X4_I0+0+0+0+2:vgprValuB_X4_I0+0+0+0+2+1], v[vgprValuA_X4_I0+0+0+0+2:vgprValuA_X4_I0+0+0+0+2+1], v[0:1]
 // Cr += Ai*Bi
/*  mfmaIndex:19  */
/* localReadsVacancy: latencyLeft 1 */
v_mfma_f64_4x4x4f64 v[2+0:3+0], v[vgprValuB_X4_I0+0+0+0+2:vgprValuB_X4_I0+0+0+0+2+1], v[vgprValuA_X4_I0+0+0+0:vgprValuA_X4_I0+0+0+0+1], v[2:3]
 // Ci += Ar*Bi
/* numPrefetchIter=0 */
/* dataAtIterA=3 numReadsIterA=5 skipReadsIterA=1 readsPerIterA=1 */
/* dataAtIterB=3 numReadsIterB=5 skipReadsIterB=1 readsPerIterB=1 */


/* iter 5 (last unrolled loop) */

/*  grEndMfmaIndex:0, lwStartMfmaIndex:23, lwEndMfmaIndex:23  */
/*  numMfmaForLR:3, barrierMfmaIndex:28, LocalWritePerMfma:0.800 */
/*  mfmaIndex:20  */
/* localReadsVacancy: latencyLeft 1 */
s_waitcnt lgkmcnt(4)                               // lgkmcnt=0 vmcnt=-1wait for prior local read local write old=2, new=2 newLW=0 newLR=0
v_add_f64 v[108:109], -v[vgprValuA_X5_I0+0+0+0+2:vgprValuA_X5_I0+0+0+0+2+1], 0 // Ai=-Ai
v_mfma_f64_4x4x4f64 v[0+0:1+0], v[vgprValuB_X5_I0+0+0+0:vgprValuB_X5_I0+0+0+0+1], v[vgprValuA_X5_I0+0+0+0:vgprValuA_X5_I0+0+0+0+1], v[0:1]
 // Cr += Ar*Br
/*  mfmaIndex:21  */
/* localReadsVacancy: latencyLeft 1 */
v_mfma_f64_4x4x4f64 v[2+0:3+0], v[vgprValuB_X5_I0+0+0+0:vgprValuB_X5_I0+0+0+0+1], v[108:109], v[2:3]
 // Ci += -Ai*Br
/*  mfmaIndex:22  */
/* localReadsVacancy: latencyLeft 1 */
v_mfma_f64_4x4x4f64 v[0+0:1+0], v[vgprValuB_X5_I0+0+0+0+2:vgprValuB_X5_I0+0+0+0+2+1], v[vgprValuA_X5_I0+0+0+0+2:vgprValuA_X5_I0+0+0+0+2+1], v[0:1]
 // Cr += Ai*Bi
/*  mfmaIndex:23  */
/* localReadsVacancy: latencyLeft 1 */
v_mfma_f64_4x4x4f64 v[2+0:3+0], v[vgprValuB_X5_I0+0+0+0+2:vgprValuB_X5_I0+0+0+0+2+1], v[vgprValuA_X5_I0+0+0+0:vgprValuA_X5_I0+0+0+0+1], v[2:3]
 // Ci += Ar*Bi
/* numPrefetchIter=0 */
/* dataAtIterA=4 numReadsIterA=6 skipReadsIterA=1 readsPerIterA=1 */
/* dataAtIterB=4 numReadsIterB=6 skipReadsIterB=1 readsPerIterB=1 */


/* iter 6 (last unrolled loop) */

/*  grEndMfmaIndex:0, lwStartMfmaIndex:23, lwEndMfmaIndex:23  */
/*  numMfmaForLR:3, barrierMfmaIndex:28, LocalWritePerMfma:0.800 */
/*  mfmaIndex:24  */
/* localReadsVacancy: latencyLeft 1 */
s_waitcnt lgkmcnt(2)                               // lgkmcnt=0 vmcnt=-1wait for prior local read local write old=2, new=2 newLW=0 newLR=0
v_add_f64 v[108:109], -v[vgprValuA_X6_I0+0+0+0+2:vgprValuA_X6_I0+0+0+0+2+1], 0 // Ai=-Ai
v_mfma_f64_4x4x4f64 v[0+0:1+0], v[vgprValuB_X6_I0+0+0+0:vgprValuB_X6_I0+0+0+0+1], v[vgprValuA_X6_I0+0+0+0:vgprValuA_X6_I0+0+0+0+1], v[0:1]
 // Cr += Ar*Br
/*  mfmaIndex:25  */
/* localReadsVacancy: latencyLeft 1 */
v_mfma_f64_4x4x4f64 v[2+0:3+0], v[vgprValuB_X6_I0+0+0+0:vgprValuB_X6_I0+0+0+0+1], v[108:109], v[2:3]
 // Ci += -Ai*Br
/*  mfmaIndex:26  */
/* localReadsVacancy: latencyLeft 1 */
v_mfma_f64_4x4x4f64 v[0+0:1+0], v[vgprValuB_X6_I0+0+0+0+2:vgprValuB_X6_I0+0+0+0+2+1], v[vgprValuA_X6_I0+0+0+0+2:vgprValuA_X6_I0+0+0+0+2+1], v[0:1]
 // Cr += Ai*Bi
/*  mfmaIndex:27  */
/* localReadsVacancy: latencyLeft 1 */
v_mfma_f64_4x4x4f64 v[2+0:3+0], v[vgprValuB_X6_I0+0+0+0+2:vgprValuB_X6_I0+0+0+0+2+1], v[vgprValuA_X6_I0+0+0+0:vgprValuA_X6_I0+0+0+0+1], v[2:3]
 // Ci += Ar*Bi
/* numPrefetchIter=0 */
/* dataAtIterA=5 numReadsIterA=7 skipReadsIterA=1 readsPerIterA=1 */
/* dataAtIterB=5 numReadsIterB=7 skipReadsIterB=1 readsPerIterB=1 */


/* iter 7 (last unrolled loop) */

/*  grEndMfmaIndex:0, lwStartMfmaIndex:23, lwEndMfmaIndex:23  */
/*  numMfmaForLR:3, barrierMfmaIndex:28, LocalWritePerMfma:0.800 */
/*  mfmaIndex:28  */
s_waitcnt lgkmcnt(0)                               // lgkmcnt=0 vmcnt=-1wait for prior local read local write old=0, new=0 newLW=0 newLR=0
v_add_f64 v[108:109], -v[vgprValuA_X7_I0+0+0+0+2:vgprValuA_X7_I0+0+0+0+2+1], 0 // Ai=-Ai
v_mfma_f64_4x4x4f64 v[0+0:1+0], v[vgprValuB_X7_I0+0+0+0:vgprValuB_X7_I0+0+0+0+1], v[vgprValuA_X7_I0+0+0+0:vgprValuA_X7_I0+0+0+0+1], v[0:1]
 // Cr += Ar*Br
/*  mfmaIndex:29  */
v_mfma_f64_4x4x4f64 v[2+0:3+0], v[vgprValuB_X7_I0+0+0+0:vgprValuB_X7_I0+0+0+0+1], v[108:109], v[2:3]
 // Ci += -Ai*Br
/*  mfmaIndex:30  */
v_mfma_f64_4x4x4f64 v[0+0:1+0], v[vgprValuB_X7_I0+0+0+0+2:vgprValuB_X7_I0+0+0+0+2+1], v[vgprValuA_X7_I0+0+0+0+2:vgprValuA_X7_I0+0+0+0+2+1], v[0:1]
 // Cr += Ai*Bi
/*  mfmaIndex:31  */
v_mfma_f64_4x4x4f64 v[2+0:3+0], v[vgprValuB_X7_I0+0+0+0+2:vgprValuB_X7_I0+0+0+0+2+1], v[vgprValuA_X7_I0+0+0+0:vgprValuA_X7_I0+0+0+0+1], v[2:3]
 // Ci += Ar*Bi
/* numPrefetchIter=0 */
/* dataAtIterA=6 numReadsIterA=7 skipReadsIterA=0 readsPerIterA=1 */
/* dataAtIterB=6 numReadsIterB=7 skipReadsIterB=0 readsPerIterB=1 */

PrefetchGlobalLastIterEnd_5:


/******************************************/
/* Tail Loop                              */
/******************************************/


/* local write reset offsets a */


v_and_b32 v[vgprLocalWriteAddrA], 0xf03fff, v[vgprLocalWriteAddrA] // reset to Red


/* local write reset offsets b */


v_and_b32 v[vgprLocalWriteAddrB], 0xf03fff, v[vgprLocalWriteAddrB] // reset to Red


//numIterL = (((sizeL % LOCAL_DEPTHU) + LOCAL_SPLITU - 1) / LOCAL_SPLITU)
s_and_b32 s[sgprLoopCounterL], 31, s[sgprSizesSum+0] // s[sgprLoopCounterL] = s[sgprSizesSum+0] % 32
s_cmp_lg_u32 s[sgprGSUSumIdx], s[sgprGSUSumIdx+1]  // gsuSumIdx == numIterPerWgRemainder
s_cmov_b32 s[sgprLoopCounterL], 0x0                // numIter=0 if gsuSumIdx!=remainder
s_cmp_eq_u32 s[sgprLoopCounterL], 0x0              // numIterL == 0
s_cbranch_scc1 SkipTailLoopL_8                     // skip to end of tail loop b/c numIter==0
s_mov_b32 s[sgprOrigLoopCounter], 0                // repurpose to count each localRead increment


/* Update M0 for DTLDS */


	;; [unrolled: 1-line block ×3, first 2 shown]
/* global read a */

/* g2l=0, load component 0 */
_buffer_load_b128 v[vgprG2LA+0+0:vgprG2LA+0+0+3], v[vgprGlobalReadOffsetA+0], s[sgprSrdA:sgprSrdA+3], 0, offen offset:0 // load one buffer value
/* g2l=4, load component 0 */
_buffer_load_b128 v[vgprG2LA+4+0:vgprG2LA+4+0+3], v[vgprGlobalReadOffsetA+0], s[sgprSrdA:sgprSrdA+3], s[sgprScalarGlobalReadOffsetA+0], offen offset:0 // load one buffer value
/* g2l=8, load component 0 */
_buffer_load_b128 v[vgprG2LA+8+0:vgprG2LA+8+0+3], v[vgprGlobalReadOffsetA+0], s[sgprSrdA:sgprSrdA+3], s[sgprScalarGlobalReadOffsetA+1], offen offset:0 // load one buffer value
	;; [unrolled: 2-line block ×3, first 2 shown]


/* Update M0 for DTLDS */


	;; [unrolled: 1-line block ×3, first 2 shown]
/* global read b */

/* g2l=0, load component 0 */
_buffer_load_b128 v[vgprG2LB+0+0:vgprG2LB+0+0+3], v[vgprGlobalReadOffsetB+0], s[sgprSrdB:sgprSrdB+3], 0, offen offset:0 // load one buffer value
/* g2l=4, load component 0 */
_buffer_load_b128 v[vgprG2LB+4+0:vgprG2LB+4+0+3], v[vgprGlobalReadOffsetB+0], s[sgprSrdB:sgprSrdB+3], s[sgprScalarGlobalReadOffsetB+0], offen offset:0 // load one buffer value
/* g2l=8, load component 0 */
_buffer_load_b128 v[vgprG2LB+8+0:vgprG2LB+8+0+3], v[vgprGlobalReadOffsetB+0], s[sgprSrdB:sgprSrdB+3], s[sgprScalarGlobalReadOffsetB+1], offen offset:0 // load one buffer value
	;; [unrolled: 2-line block ×3, first 2 shown]

s_waitcnt vmcnt(0)                                 // lgkmcnt=-1 vmcnt=02wait for global read

// Skip barrier: NumThreads=64


/* Done global A/B reads */


	;; [unrolled: 1-line block ×4, first 2 shown]
/* local write a */

_ds_store_b128 v[vgprLocalWriteAddrA], v[vgprG2LA+0:vgprG2LA+0+3] offset:0 // lwoA_0_0_0_0 = (0*LSCA)*(MT0I+PAD) + (0*LSPA) = 0
_ds_store_b128 v[vgprLocalWriteAddrA], v[vgprG2LA+4:vgprG2LA+4+3] offset:1056 // lwoA_0_0_1_0 = (0*LSCA)*(MT0I+PAD) + (1*LSPA) = 1056
_ds_store_b128 v[vgprLocalWriteAddrA], v[vgprG2LA+8:vgprG2LA+8+3] offset:2112 // lwoA_0_0_2_0 = (0*LSCA)*(MT0I+PAD) + (2*LSPA) = 2112
_ds_store_b128 v[vgprLocalWriteAddrA], v[vgprG2LA+12:vgprG2LA+12+3] offset:3168 // lwoA_0_0_3_0 = (0*LSCA)*(MT0I+PAD) + (3*LSPA) = 3168


/* local write b */

_ds_store_b128 v[vgprLocalWriteAddrB], v[vgprG2LB+0:vgprG2LB+0+3] offset:0 // lwoB_0_0_0_0 = (0*LSCB)*(MT1J+PAD) + (0*LSPB) = 0
_ds_store_b128 v[vgprLocalWriteAddrB], v[vgprG2LB+4:vgprG2LB+4+3] offset:1056 // lwoB_0_0_1_0 = (0*LSCB)*(MT1J+PAD) + (1*LSPB) = 1056
_ds_store_b128 v[vgprLocalWriteAddrB], v[vgprG2LB+8:vgprG2LB+8+3] offset:2112 // lwoB_0_0_2_0 = (0*LSCB)*(MT1J+PAD) + (2*LSPB) = 2112
_ds_store_b128 v[vgprLocalWriteAddrB], v[vgprG2LB+12:vgprG2LB+12+3] offset:3168 // lwoB_0_0_3_0 = (0*LSCB)*(MT1J+PAD) + (3*LSPB) = 3168


/* Recalc local read offsets */


s_waitcnt lgkmcnt(0)                               // lgkmcnt=0 vmcnt=-15wait for local write

// Skip barrier: NumThreads=64


/* local read reset offsets a */


/* localReadResetOffsets */
/* handled internally */
v_and_b32 v[vgprLocalReadAddrA], 0x3fff, v[vgprLocalReadAddrA] // reset Red,Blk -> Red


/* local read reset offsets b */


/* localReadResetOffsets */
/* handled internally */
v_and_b32 v[vgprLocalReadAddrB], 0x3fff, v[vgprLocalReadAddrB] // reset Red,Blk -> Red


/* local read init pointers a */


/* localReadInitPointers */


/* local read init pointers b */


/* localReadInitPointers */


/* tail loop: macs */

TailLoopBeginL_6:


/* tail loop unroll iter 0 */


/* local read a */

_ds_load_b128 v[vgprValuA_X0_I0+0:vgprValuA_X0_I0+0+3], v[vgprLocalReadAddrA] offset:0 // L -> Reg lro=0 swapByteOffset=0 ti=8 vIdx=0 rIdx=0 oIdx=0 buffer=0 iui=0


/* local read b */

_ds_load_b128 v[vgprValuB_X0_I0+0:vgprValuB_X0_I0+0+3], v[vgprLocalReadAddrB] offset:0 // L -> Reg lro=0 swapByteOffset=0 ti=8 vIdx=0 rIdx=0 oIdx=0 buffer=0 iui=0


/* local read inc a */

s_mov_b32 s10, 0x40                                // inc
_v_add_co_u32 v[vgprLocalReadAddrA], vcc, s10, v[vgprLocalReadAddrA] // lrA += 64 (LSU*bpe)


/* local read inc b */

s_mov_b32 s10, 0x40                                // inc
_v_add_co_u32 v[vgprLocalReadAddrB], vcc, s10, v[vgprLocalReadAddrB] // lrB += 64 (LSU*bpe)

s_waitcnt lgkmcnt(0)                               // lgkmcnt=0 vmcnt=-14wait for local read


	;; [unrolled: 1-line block ×3, first 2 shown]
/* tail loop mfma iter 0: numReadsIterCoalescedA=1, numReadsIterCoalescedB=1 */
v_and_b32 v107, 63, v[vgprSerial]                  // v107 = v[vgprSerial] % 64
v_lshrrev_b32 v107, 4, v107                        // v107 = v107 / 16
                                                   // v107 = v107 * 1 (multiplier is 1, do nothing)
v_cmp_ge_i32 s[68:69], v107, s[sgprLoopCounterL]   // check K index >= Size L
v_cndmask_b32 v[vgprValuA_X0_I0+0+0+0+0], v[vgprValuA_X0_I0+0+0+0+0], 0x0, s[68:69] // set 0 if K_idx >= sizeL
v_cndmask_b32 v[vgprValuB_X0_I0+0+0+0+0], v[vgprValuB_X0_I0+0+0+0+0], 0x0, s[68:69] // set 0 if K_idx >= sizeL
v_cndmask_b32 v[vgprValuA_X0_I0+0+0+0+1], v[vgprValuA_X0_I0+0+0+0+1], 0x0, s[68:69] // set 0 if K_idx >= sizeL
v_cndmask_b32 v[vgprValuB_X0_I0+0+0+0+1], v[vgprValuB_X0_I0+0+0+0+1], 0x0, s[68:69] // set 0 if K_idx >= sizeL
	;; [unrolled: 2-line block ×4, first 2 shown]
s_nop 1
v_add_f64 v[108:109], -v[vgprValuA_X0_I0+0+0+0+2:vgprValuA_X0_I0+0+0+0+2+1], 0 // Ai=-Ai
v_mfma_f64_4x4x4f64 v[0+0:1+0], v[vgprValuB_X0_I0+0+0+0:vgprValuB_X0_I0+0+0+0+1], v[vgprValuA_X0_I0+0+0+0:vgprValuA_X0_I0+0+0+0+1], v[0:1]
 // Cr += Ar*Br
v_mfma_f64_4x4x4f64 v[2+0:3+0], v[vgprValuB_X0_I0+0+0+0:vgprValuB_X0_I0+0+0+0+1], v[108:109], v[2:3]
 // Ci += -Ai*Br
v_mfma_f64_4x4x4f64 v[0+0:1+0], v[vgprValuB_X0_I0+0+0+0+2:vgprValuB_X0_I0+0+0+0+2+1], v[vgprValuA_X0_I0+0+0+0+2:vgprValuA_X0_I0+0+0+0+2+1], v[0:1]
 // Cr += Ai*Bi
v_mfma_f64_4x4x4f64 v[2+0:3+0], v[vgprValuB_X0_I0+0+0+0+2:vgprValuB_X0_I0+0+0+0+2+1], v[vgprValuA_X0_I0+0+0+0:vgprValuA_X0_I0+0+0+0+1], v[2:3]
 // Ci += Ar*Bi


/* closeLoop loopL finalLoop=0 tailLoop=1 */
s_sub_i32 s[sgprLoopCounterL], s[sgprLoopCounterL], 0x4 // dec counterL (tailLoop)
s_add_u32 s[sgprOrigLoopCounter], s[sgprOrigLoopCounter], 0x4 // inc counterL
s_cmp_le_i32 s[sgprLoopCounterL], 0x0              // counterL<=0
s_cbranch_scc1 TailLoopEndL_7                      // exit LoopL


/* tail loop unroll iter 1 */


/* local read a */

_ds_load_b128 v[vgprValuA_X1_I0+0:vgprValuA_X1_I0+0+3], v[vgprLocalReadAddrA] offset:0 // L -> Reg lro=0 swapByteOffset=0 ti=8 vIdx=0 rIdx=0 oIdx=0 buffer=1 iui=0


/* local read b */

_ds_load_b128 v[vgprValuB_X1_I0+0:vgprValuB_X1_I0+0+3], v[vgprLocalReadAddrB] offset:0 // L -> Reg lro=0 swapByteOffset=0 ti=8 vIdx=0 rIdx=0 oIdx=0 buffer=1 iui=0


/* local read inc a */

s_mov_b32 s10, 0x40                                // inc
_v_add_co_u32 v[vgprLocalReadAddrA], vcc, s10, v[vgprLocalReadAddrA] // lrA += 64 (LSU*bpe)


/* local read inc b */

s_mov_b32 s10, 0x40                                // inc
_v_add_co_u32 v[vgprLocalReadAddrB], vcc, s10, v[vgprLocalReadAddrB] // lrB += 64 (LSU*bpe)

s_waitcnt lgkmcnt(0)                               // lgkmcnt=0 vmcnt=-14wait for local read


	;; [unrolled: 1-line block ×3, first 2 shown]
/* tail loop mfma iter 1: numReadsIterCoalescedA=1, numReadsIterCoalescedB=1 */
v_and_b32 v107, 63, v[vgprSerial]                  // v107 = v[vgprSerial] % 64
v_lshrrev_b32 v107, 4, v107                        // v107 = v107 / 16
                                                   // v107 = v107 * 1 (multiplier is 1, do nothing)
v_cmp_ge_i32 s[68:69], v107, s[sgprLoopCounterL]   // check K index >= Size L
v_cndmask_b32 v[vgprValuA_X1_I0+0+0+0+0], v[vgprValuA_X1_I0+0+0+0+0], 0x0, s[68:69] // set 0 if K_idx >= sizeL
v_cndmask_b32 v[vgprValuB_X1_I0+0+0+0+0], v[vgprValuB_X1_I0+0+0+0+0], 0x0, s[68:69] // set 0 if K_idx >= sizeL
v_cndmask_b32 v[vgprValuA_X1_I0+0+0+0+1], v[vgprValuA_X1_I0+0+0+0+1], 0x0, s[68:69] // set 0 if K_idx >= sizeL
v_cndmask_b32 v[vgprValuB_X1_I0+0+0+0+1], v[vgprValuB_X1_I0+0+0+0+1], 0x0, s[68:69] // set 0 if K_idx >= sizeL
	;; [unrolled: 2-line block ×4, first 2 shown]
s_nop 1
v_add_f64 v[108:109], -v[vgprValuA_X1_I0+0+0+0+2:vgprValuA_X1_I0+0+0+0+2+1], 0 // Ai=-Ai
v_mfma_f64_4x4x4f64 v[0+0:1+0], v[vgprValuB_X1_I0+0+0+0:vgprValuB_X1_I0+0+0+0+1], v[vgprValuA_X1_I0+0+0+0:vgprValuA_X1_I0+0+0+0+1], v[0:1]
 // Cr += Ar*Br
v_mfma_f64_4x4x4f64 v[2+0:3+0], v[vgprValuB_X1_I0+0+0+0:vgprValuB_X1_I0+0+0+0+1], v[108:109], v[2:3]
 // Ci += -Ai*Br
v_mfma_f64_4x4x4f64 v[0+0:1+0], v[vgprValuB_X1_I0+0+0+0+2:vgprValuB_X1_I0+0+0+0+2+1], v[vgprValuA_X1_I0+0+0+0+2:vgprValuA_X1_I0+0+0+0+2+1], v[0:1]
 // Cr += Ai*Bi
v_mfma_f64_4x4x4f64 v[2+0:3+0], v[vgprValuB_X1_I0+0+0+0+2:vgprValuB_X1_I0+0+0+0+2+1], v[vgprValuA_X1_I0+0+0+0:vgprValuA_X1_I0+0+0+0+1], v[2:3]
 // Ci += Ar*Bi


/* closeLoop loopL finalLoop=0 tailLoop=1 */
s_sub_i32 s[sgprLoopCounterL], s[sgprLoopCounterL], 0x4 // dec counterL (tailLoop)
s_add_u32 s[sgprOrigLoopCounter], s[sgprOrigLoopCounter], 0x4 // inc counterL
s_cmp_le_i32 s[sgprLoopCounterL], 0x0              // counterL<=0
s_cbranch_scc1 TailLoopEndL_7                      // exit LoopL


/* tail loop unroll iter 2 */


/* local read a */

_ds_load_b128 v[vgprValuA_X2_I0+0:vgprValuA_X2_I0+0+3], v[vgprLocalReadAddrA] offset:0 // L -> Reg lro=0 swapByteOffset=0 ti=8 vIdx=0 rIdx=0 oIdx=0 buffer=2 iui=0


/* local read b */

_ds_load_b128 v[vgprValuB_X2_I0+0:vgprValuB_X2_I0+0+3], v[vgprLocalReadAddrB] offset:0 // L -> Reg lro=0 swapByteOffset=0 ti=8 vIdx=0 rIdx=0 oIdx=0 buffer=2 iui=0


/* local read inc a */

s_mov_b32 s10, 0x40                                // inc
_v_add_co_u32 v[vgprLocalReadAddrA], vcc, s10, v[vgprLocalReadAddrA] // lrA += 64 (LSU*bpe)


/* local read inc b */

s_mov_b32 s10, 0x40                                // inc
_v_add_co_u32 v[vgprLocalReadAddrB], vcc, s10, v[vgprLocalReadAddrB] // lrB += 64 (LSU*bpe)

s_waitcnt lgkmcnt(0)                               // lgkmcnt=0 vmcnt=-14wait for local read


	;; [unrolled: 1-line block ×3, first 2 shown]
/* tail loop mfma iter 2: numReadsIterCoalescedA=1, numReadsIterCoalescedB=1 */
v_and_b32 v107, 63, v[vgprSerial]                  // v107 = v[vgprSerial] % 64
v_lshrrev_b32 v107, 4, v107                        // v107 = v107 / 16
                                                   // v107 = v107 * 1 (multiplier is 1, do nothing)
v_cmp_ge_i32 s[68:69], v107, s[sgprLoopCounterL]   // check K index >= Size L
v_cndmask_b32 v[vgprValuA_X2_I0+0+0+0+0], v[vgprValuA_X2_I0+0+0+0+0], 0x0, s[68:69] // set 0 if K_idx >= sizeL
v_cndmask_b32 v[vgprValuB_X2_I0+0+0+0+0], v[vgprValuB_X2_I0+0+0+0+0], 0x0, s[68:69] // set 0 if K_idx >= sizeL
v_cndmask_b32 v[vgprValuA_X2_I0+0+0+0+1], v[vgprValuA_X2_I0+0+0+0+1], 0x0, s[68:69] // set 0 if K_idx >= sizeL
v_cndmask_b32 v[vgprValuB_X2_I0+0+0+0+1], v[vgprValuB_X2_I0+0+0+0+1], 0x0, s[68:69] // set 0 if K_idx >= sizeL
	;; [unrolled: 2-line block ×4, first 2 shown]
s_nop 1
v_add_f64 v[108:109], -v[vgprValuA_X2_I0+0+0+0+2:vgprValuA_X2_I0+0+0+0+2+1], 0 // Ai=-Ai
v_mfma_f64_4x4x4f64 v[0+0:1+0], v[vgprValuB_X2_I0+0+0+0:vgprValuB_X2_I0+0+0+0+1], v[vgprValuA_X2_I0+0+0+0:vgprValuA_X2_I0+0+0+0+1], v[0:1]
 // Cr += Ar*Br
v_mfma_f64_4x4x4f64 v[2+0:3+0], v[vgprValuB_X2_I0+0+0+0:vgprValuB_X2_I0+0+0+0+1], v[108:109], v[2:3]
 // Ci += -Ai*Br
v_mfma_f64_4x4x4f64 v[0+0:1+0], v[vgprValuB_X2_I0+0+0+0+2:vgprValuB_X2_I0+0+0+0+2+1], v[vgprValuA_X2_I0+0+0+0+2:vgprValuA_X2_I0+0+0+0+2+1], v[0:1]
 // Cr += Ai*Bi
v_mfma_f64_4x4x4f64 v[2+0:3+0], v[vgprValuB_X2_I0+0+0+0+2:vgprValuB_X2_I0+0+0+0+2+1], v[vgprValuA_X2_I0+0+0+0:vgprValuA_X2_I0+0+0+0+1], v[2:3]
 // Ci += Ar*Bi


/* closeLoop loopL finalLoop=0 tailLoop=1 */
s_sub_i32 s[sgprLoopCounterL], s[sgprLoopCounterL], 0x4 // dec counterL (tailLoop)
s_add_u32 s[sgprOrigLoopCounter], s[sgprOrigLoopCounter], 0x4 // inc counterL
s_cmp_le_i32 s[sgprLoopCounterL], 0x0              // counterL<=0
s_cbranch_scc1 TailLoopEndL_7                      // exit LoopL


/* tail loop unroll iter 3 */


/* local read a */

_ds_load_b128 v[vgprValuA_X3_I0+0:vgprValuA_X3_I0+0+3], v[vgprLocalReadAddrA] offset:0 // L -> Reg lro=0 swapByteOffset=0 ti=8 vIdx=0 rIdx=0 oIdx=0 buffer=3 iui=0


/* local read b */

_ds_load_b128 v[vgprValuB_X3_I0+0:vgprValuB_X3_I0+0+3], v[vgprLocalReadAddrB] offset:0 // L -> Reg lro=0 swapByteOffset=0 ti=8 vIdx=0 rIdx=0 oIdx=0 buffer=3 iui=0


/* local read inc a */

s_mov_b32 s10, 0x40                                // inc
_v_add_co_u32 v[vgprLocalReadAddrA], vcc, s10, v[vgprLocalReadAddrA] // lrA += 64 (LSU*bpe)


/* local read inc b */

s_mov_b32 s10, 0x40                                // inc
_v_add_co_u32 v[vgprLocalReadAddrB], vcc, s10, v[vgprLocalReadAddrB] // lrB += 64 (LSU*bpe)

s_waitcnt lgkmcnt(0)                               // lgkmcnt=0 vmcnt=-14wait for local read


	;; [unrolled: 1-line block ×3, first 2 shown]
/* tail loop mfma iter 3: numReadsIterCoalescedA=1, numReadsIterCoalescedB=1 */
v_and_b32 v107, 63, v[vgprSerial]                  // v107 = v[vgprSerial] % 64
v_lshrrev_b32 v107, 4, v107                        // v107 = v107 / 16
                                                   // v107 = v107 * 1 (multiplier is 1, do nothing)
v_cmp_ge_i32 s[68:69], v107, s[sgprLoopCounterL]   // check K index >= Size L
v_cndmask_b32 v[vgprValuA_X3_I0+0+0+0+0], v[vgprValuA_X3_I0+0+0+0+0], 0x0, s[68:69] // set 0 if K_idx >= sizeL
v_cndmask_b32 v[vgprValuB_X3_I0+0+0+0+0], v[vgprValuB_X3_I0+0+0+0+0], 0x0, s[68:69] // set 0 if K_idx >= sizeL
v_cndmask_b32 v[vgprValuA_X3_I0+0+0+0+1], v[vgprValuA_X3_I0+0+0+0+1], 0x0, s[68:69] // set 0 if K_idx >= sizeL
v_cndmask_b32 v[vgprValuB_X3_I0+0+0+0+1], v[vgprValuB_X3_I0+0+0+0+1], 0x0, s[68:69] // set 0 if K_idx >= sizeL
	;; [unrolled: 2-line block ×4, first 2 shown]
s_nop 1
v_add_f64 v[108:109], -v[vgprValuA_X3_I0+0+0+0+2:vgprValuA_X3_I0+0+0+0+2+1], 0 // Ai=-Ai
v_mfma_f64_4x4x4f64 v[0+0:1+0], v[vgprValuB_X3_I0+0+0+0:vgprValuB_X3_I0+0+0+0+1], v[vgprValuA_X3_I0+0+0+0:vgprValuA_X3_I0+0+0+0+1], v[0:1]
 // Cr += Ar*Br
v_mfma_f64_4x4x4f64 v[2+0:3+0], v[vgprValuB_X3_I0+0+0+0:vgprValuB_X3_I0+0+0+0+1], v[108:109], v[2:3]
 // Ci += -Ai*Br
v_mfma_f64_4x4x4f64 v[0+0:1+0], v[vgprValuB_X3_I0+0+0+0+2:vgprValuB_X3_I0+0+0+0+2+1], v[vgprValuA_X3_I0+0+0+0+2:vgprValuA_X3_I0+0+0+0+2+1], v[0:1]
 // Cr += Ai*Bi
v_mfma_f64_4x4x4f64 v[2+0:3+0], v[vgprValuB_X3_I0+0+0+0+2:vgprValuB_X3_I0+0+0+0+2+1], v[vgprValuA_X3_I0+0+0+0:vgprValuA_X3_I0+0+0+0+1], v[2:3]
 // Ci += Ar*Bi


/* closeLoop loopL finalLoop=0 tailLoop=1 */
s_sub_i32 s[sgprLoopCounterL], s[sgprLoopCounterL], 0x4 // dec counterL (tailLoop)
s_add_u32 s[sgprOrigLoopCounter], s[sgprOrigLoopCounter], 0x4 // inc counterL
s_cmp_le_i32 s[sgprLoopCounterL], 0x0              // counterL<=0
s_cbranch_scc1 TailLoopEndL_7                      // exit LoopL


/* tail loop unroll iter 4 */


/* local read a */

_ds_load_b128 v[vgprValuA_X4_I0+0:vgprValuA_X4_I0+0+3], v[vgprLocalReadAddrA] offset:0 // L -> Reg lro=0 swapByteOffset=0 ti=8 vIdx=0 rIdx=0 oIdx=0 buffer=4 iui=0


/* local read b */

_ds_load_b128 v[vgprValuB_X4_I0+0:vgprValuB_X4_I0+0+3], v[vgprLocalReadAddrB] offset:0 // L -> Reg lro=0 swapByteOffset=0 ti=8 vIdx=0 rIdx=0 oIdx=0 buffer=4 iui=0


/* local read inc a */

s_mov_b32 s10, 0x40                                // inc
_v_add_co_u32 v[vgprLocalReadAddrA], vcc, s10, v[vgprLocalReadAddrA] // lrA += 64 (LSU*bpe)


/* local read inc b */

s_mov_b32 s10, 0x40                                // inc
_v_add_co_u32 v[vgprLocalReadAddrB], vcc, s10, v[vgprLocalReadAddrB] // lrB += 64 (LSU*bpe)

s_waitcnt lgkmcnt(0)                               // lgkmcnt=0 vmcnt=-14wait for local read


	;; [unrolled: 1-line block ×3, first 2 shown]
/* tail loop mfma iter 4: numReadsIterCoalescedA=1, numReadsIterCoalescedB=1 */
v_and_b32 v107, 63, v[vgprSerial]                  // v107 = v[vgprSerial] % 64
v_lshrrev_b32 v107, 4, v107                        // v107 = v107 / 16
                                                   // v107 = v107 * 1 (multiplier is 1, do nothing)
v_cmp_ge_i32 s[68:69], v107, s[sgprLoopCounterL]   // check K index >= Size L
v_cndmask_b32 v[vgprValuA_X4_I0+0+0+0+0], v[vgprValuA_X4_I0+0+0+0+0], 0x0, s[68:69] // set 0 if K_idx >= sizeL
v_cndmask_b32 v[vgprValuB_X4_I0+0+0+0+0], v[vgprValuB_X4_I0+0+0+0+0], 0x0, s[68:69] // set 0 if K_idx >= sizeL
v_cndmask_b32 v[vgprValuA_X4_I0+0+0+0+1], v[vgprValuA_X4_I0+0+0+0+1], 0x0, s[68:69] // set 0 if K_idx >= sizeL
v_cndmask_b32 v[vgprValuB_X4_I0+0+0+0+1], v[vgprValuB_X4_I0+0+0+0+1], 0x0, s[68:69] // set 0 if K_idx >= sizeL
	;; [unrolled: 2-line block ×4, first 2 shown]
s_nop 1
v_add_f64 v[108:109], -v[vgprValuA_X4_I0+0+0+0+2:vgprValuA_X4_I0+0+0+0+2+1], 0 // Ai=-Ai
v_mfma_f64_4x4x4f64 v[0+0:1+0], v[vgprValuB_X4_I0+0+0+0:vgprValuB_X4_I0+0+0+0+1], v[vgprValuA_X4_I0+0+0+0:vgprValuA_X4_I0+0+0+0+1], v[0:1]
 // Cr += Ar*Br
v_mfma_f64_4x4x4f64 v[2+0:3+0], v[vgprValuB_X4_I0+0+0+0:vgprValuB_X4_I0+0+0+0+1], v[108:109], v[2:3]
 // Ci += -Ai*Br
v_mfma_f64_4x4x4f64 v[0+0:1+0], v[vgprValuB_X4_I0+0+0+0+2:vgprValuB_X4_I0+0+0+0+2+1], v[vgprValuA_X4_I0+0+0+0+2:vgprValuA_X4_I0+0+0+0+2+1], v[0:1]
 // Cr += Ai*Bi
v_mfma_f64_4x4x4f64 v[2+0:3+0], v[vgprValuB_X4_I0+0+0+0+2:vgprValuB_X4_I0+0+0+0+2+1], v[vgprValuA_X4_I0+0+0+0:vgprValuA_X4_I0+0+0+0+1], v[2:3]
 // Ci += Ar*Bi


/* closeLoop loopL finalLoop=0 tailLoop=1 */
s_sub_i32 s[sgprLoopCounterL], s[sgprLoopCounterL], 0x4 // dec counterL (tailLoop)
s_add_u32 s[sgprOrigLoopCounter], s[sgprOrigLoopCounter], 0x4 // inc counterL
s_cmp_le_i32 s[sgprLoopCounterL], 0x0              // counterL<=0
s_cbranch_scc1 TailLoopEndL_7                      // exit LoopL


/* tail loop unroll iter 5 */


/* local read a */

_ds_load_b128 v[vgprValuA_X5_I0+0:vgprValuA_X5_I0+0+3], v[vgprLocalReadAddrA] offset:0 // L -> Reg lro=0 swapByteOffset=0 ti=8 vIdx=0 rIdx=0 oIdx=0 buffer=5 iui=0


/* local read b */

_ds_load_b128 v[vgprValuB_X5_I0+0:vgprValuB_X5_I0+0+3], v[vgprLocalReadAddrB] offset:0 // L -> Reg lro=0 swapByteOffset=0 ti=8 vIdx=0 rIdx=0 oIdx=0 buffer=5 iui=0


/* local read inc a */

s_mov_b32 s10, 0x40                                // inc
_v_add_co_u32 v[vgprLocalReadAddrA], vcc, s10, v[vgprLocalReadAddrA] // lrA += 64 (LSU*bpe)


/* local read inc b */

s_mov_b32 s10, 0x40                                // inc
_v_add_co_u32 v[vgprLocalReadAddrB], vcc, s10, v[vgprLocalReadAddrB] // lrB += 64 (LSU*bpe)

s_waitcnt lgkmcnt(0)                               // lgkmcnt=0 vmcnt=-14wait for local read



/* tail loop mfma iter 5: numReadsIterCoalescedA=1, numReadsIterCoalescedB=1 */
v_and_b32 v107, 63, v[vgprSerial]                  // v107 = v[vgprSerial] % 64
v_lshrrev_b32 v107, 4, v107                        // v107 = v107 / 16
                                                   // v107 = v107 * 1 (multiplier is 1, do nothing)
v_cmp_ge_i32 s[68:69], v107, s[sgprLoopCounterL]   // check K index >= Size L
v_cndmask_b32 v[vgprValuA_X5_I0+0+0+0+0], v[vgprValuA_X5_I0+0+0+0+0], 0x0, s[68:69] // set 0 if K_idx >= sizeL
v_cndmask_b32 v[vgprValuB_X5_I0+0+0+0+0], v[vgprValuB_X5_I0+0+0+0+0], 0x0, s[68:69] // set 0 if K_idx >= sizeL
v_cndmask_b32 v[vgprValuA_X5_I0+0+0+0+1], v[vgprValuA_X5_I0+0+0+0+1], 0x0, s[68:69] // set 0 if K_idx >= sizeL
v_cndmask_b32 v[vgprValuB_X5_I0+0+0+0+1], v[vgprValuB_X5_I0+0+0+0+1], 0x0, s[68:69] // set 0 if K_idx >= sizeL
	;; [unrolled: 2-line block ×4, first 2 shown]
s_nop 1
v_add_f64 v[108:109], -v[vgprValuA_X5_I0+0+0+0+2:vgprValuA_X5_I0+0+0+0+2+1], 0 // Ai=-Ai
v_mfma_f64_4x4x4f64 v[0+0:1+0], v[vgprValuB_X5_I0+0+0+0:vgprValuB_X5_I0+0+0+0+1], v[vgprValuA_X5_I0+0+0+0:vgprValuA_X5_I0+0+0+0+1], v[0:1]
 // Cr += Ar*Br
v_mfma_f64_4x4x4f64 v[2+0:3+0], v[vgprValuB_X5_I0+0+0+0:vgprValuB_X5_I0+0+0+0+1], v[108:109], v[2:3]
 // Ci += -Ai*Br
v_mfma_f64_4x4x4f64 v[0+0:1+0], v[vgprValuB_X5_I0+0+0+0+2:vgprValuB_X5_I0+0+0+0+2+1], v[vgprValuA_X5_I0+0+0+0+2:vgprValuA_X5_I0+0+0+0+2+1], v[0:1]
 // Cr += Ai*Bi
v_mfma_f64_4x4x4f64 v[2+0:3+0], v[vgprValuB_X5_I0+0+0+0+2:vgprValuB_X5_I0+0+0+0+2+1], v[vgprValuA_X5_I0+0+0+0:vgprValuA_X5_I0+0+0+0+1], v[2:3]
 // Ci += Ar*Bi


/* closeLoop loopL finalLoop=0 tailLoop=1 */
s_sub_i32 s[sgprLoopCounterL], s[sgprLoopCounterL], 0x4 // dec counterL (tailLoop)
s_add_u32 s[sgprOrigLoopCounter], s[sgprOrigLoopCounter], 0x4 // inc counterL
s_cmp_le_i32 s[sgprLoopCounterL], 0x0              // counterL<=0
s_cbranch_scc1 TailLoopEndL_7                      // exit LoopL


/* tail loop unroll iter 6 */


/* local read a */

_ds_load_b128 v[vgprValuA_X6_I0+0:vgprValuA_X6_I0+0+3], v[vgprLocalReadAddrA] offset:0 // L -> Reg lro=0 swapByteOffset=0 ti=8 vIdx=0 rIdx=0 oIdx=0 buffer=6 iui=0


/* local read b */

_ds_load_b128 v[vgprValuB_X6_I0+0:vgprValuB_X6_I0+0+3], v[vgprLocalReadAddrB] offset:0 // L -> Reg lro=0 swapByteOffset=0 ti=8 vIdx=0 rIdx=0 oIdx=0 buffer=6 iui=0


/* local read inc a */

s_mov_b32 s10, 0x40                                // inc
_v_add_co_u32 v[vgprLocalReadAddrA], vcc, s10, v[vgprLocalReadAddrA] // lrA += 64 (LSU*bpe)


/* local read inc b */

s_mov_b32 s10, 0x40                                // inc
_v_add_co_u32 v[vgprLocalReadAddrB], vcc, s10, v[vgprLocalReadAddrB] // lrB += 64 (LSU*bpe)

s_waitcnt lgkmcnt(0)                               // lgkmcnt=0 vmcnt=-14wait for local read


	;; [unrolled: 1-line block ×3, first 2 shown]
/* tail loop mfma iter 6: numReadsIterCoalescedA=1, numReadsIterCoalescedB=1 */
v_and_b32 v107, 63, v[vgprSerial]                  // v107 = v[vgprSerial] % 64
v_lshrrev_b32 v107, 4, v107                        // v107 = v107 / 16
                                                   // v107 = v107 * 1 (multiplier is 1, do nothing)
v_cmp_ge_i32 s[68:69], v107, s[sgprLoopCounterL]   // check K index >= Size L
v_cndmask_b32 v[vgprValuA_X6_I0+0+0+0+0], v[vgprValuA_X6_I0+0+0+0+0], 0x0, s[68:69] // set 0 if K_idx >= sizeL
v_cndmask_b32 v[vgprValuB_X6_I0+0+0+0+0], v[vgprValuB_X6_I0+0+0+0+0], 0x0, s[68:69] // set 0 if K_idx >= sizeL
v_cndmask_b32 v[vgprValuA_X6_I0+0+0+0+1], v[vgprValuA_X6_I0+0+0+0+1], 0x0, s[68:69] // set 0 if K_idx >= sizeL
v_cndmask_b32 v[vgprValuB_X6_I0+0+0+0+1], v[vgprValuB_X6_I0+0+0+0+1], 0x0, s[68:69] // set 0 if K_idx >= sizeL
v_cndmask_b32 v[vgprValuA_X6_I0+0+0+0+2], v[vgprValuA_X6_I0+0+0+0+2], 0x0, s[68:69] // set 0 if K_idx >= sizeL
v_cndmask_b32 v[vgprValuB_X6_I0+0+0+0+2], v[vgprValuB_X6_I0+0+0+0+2], 0x0, s[68:69] // set 0 if K_idx >= sizeL
v_cndmask_b32 v[vgprValuA_X6_I0+0+0+0+3], v[vgprValuA_X6_I0+0+0+0+3], 0x0, s[68:69] // set 0 if K_idx >= sizeL
v_cndmask_b32 v[vgprValuB_X6_I0+0+0+0+3], v[vgprValuB_X6_I0+0+0+0+3], 0x0, s[68:69] // set 0 if K_idx >= sizeL
s_nop 1
v_add_f64 v[108:109], -v[vgprValuA_X6_I0+0+0+0+2:vgprValuA_X6_I0+0+0+0+2+1], 0 // Ai=-Ai
v_mfma_f64_4x4x4f64 v[0+0:1+0], v[vgprValuB_X6_I0+0+0+0:vgprValuB_X6_I0+0+0+0+1], v[vgprValuA_X6_I0+0+0+0:vgprValuA_X6_I0+0+0+0+1], v[0:1]
 // Cr += Ar*Br
v_mfma_f64_4x4x4f64 v[2+0:3+0], v[vgprValuB_X6_I0+0+0+0:vgprValuB_X6_I0+0+0+0+1], v[108:109], v[2:3]
 // Ci += -Ai*Br
v_mfma_f64_4x4x4f64 v[0+0:1+0], v[vgprValuB_X6_I0+0+0+0+2:vgprValuB_X6_I0+0+0+0+2+1], v[vgprValuA_X6_I0+0+0+0+2:vgprValuA_X6_I0+0+0+0+2+1], v[0:1]
 // Cr += Ai*Bi
v_mfma_f64_4x4x4f64 v[2+0:3+0], v[vgprValuB_X6_I0+0+0+0+2:vgprValuB_X6_I0+0+0+0+2+1], v[vgprValuA_X6_I0+0+0+0:vgprValuA_X6_I0+0+0+0+1], v[2:3]
 // Ci += Ar*Bi


/* closeLoop loopL finalLoop=0 tailLoop=1 */
s_sub_i32 s[sgprLoopCounterL], s[sgprLoopCounterL], 0x4 // dec counterL (tailLoop)
s_add_u32 s[sgprOrigLoopCounter], s[sgprOrigLoopCounter], 0x4 // inc counterL
s_cmp_le_i32 s[sgprLoopCounterL], 0x0              // counterL<=0
s_cbranch_scc1 TailLoopEndL_7                      // exit LoopL


/* tail loop unroll iter 7 */


/* local read a */

_ds_load_b128 v[vgprValuA_X7_I0+0:vgprValuA_X7_I0+0+3], v[vgprLocalReadAddrA] offset:0 // L -> Reg lro=0 swapByteOffset=0 ti=8 vIdx=0 rIdx=0 oIdx=0 buffer=7 iui=0


/* local read b */

_ds_load_b128 v[vgprValuB_X7_I0+0:vgprValuB_X7_I0+0+3], v[vgprLocalReadAddrB] offset:0 // L -> Reg lro=0 swapByteOffset=0 ti=8 vIdx=0 rIdx=0 oIdx=0 buffer=7 iui=0


/* local read inc a */

s_mov_b32 s10, 0x50                                // inc
_v_add_co_u32 v[vgprLocalReadAddrA], vcc, s10, v[vgprLocalReadAddrA] // lrA += 80 (LSU*bpe)


/* local read inc b */

s_mov_b32 s10, 0x50                                // inc
_v_add_co_u32 v[vgprLocalReadAddrB], vcc, s10, v[vgprLocalReadAddrB] // lrB += 80 (LSU*bpe)

s_waitcnt lgkmcnt(0)                               // lgkmcnt=0 vmcnt=-14wait for local read


	;; [unrolled: 1-line block ×3, first 2 shown]
/* tail loop mfma iter 7: numReadsIterCoalescedA=1, numReadsIterCoalescedB=1 */
v_and_b32 v107, 63, v[vgprSerial]                  // v107 = v[vgprSerial] % 64
v_lshrrev_b32 v107, 4, v107                        // v107 = v107 / 16
                                                   // v107 = v107 * 1 (multiplier is 1, do nothing)
v_cmp_ge_i32 s[68:69], v107, s[sgprLoopCounterL]   // check K index >= Size L
v_cndmask_b32 v[vgprValuA_X7_I0+0+0+0+0], v[vgprValuA_X7_I0+0+0+0+0], 0x0, s[68:69] // set 0 if K_idx >= sizeL
v_cndmask_b32 v[vgprValuB_X7_I0+0+0+0+0], v[vgprValuB_X7_I0+0+0+0+0], 0x0, s[68:69] // set 0 if K_idx >= sizeL
v_cndmask_b32 v[vgprValuA_X7_I0+0+0+0+1], v[vgprValuA_X7_I0+0+0+0+1], 0x0, s[68:69] // set 0 if K_idx >= sizeL
v_cndmask_b32 v[vgprValuB_X7_I0+0+0+0+1], v[vgprValuB_X7_I0+0+0+0+1], 0x0, s[68:69] // set 0 if K_idx >= sizeL
	;; [unrolled: 2-line block ×4, first 2 shown]
s_nop 1
v_add_f64 v[108:109], -v[vgprValuA_X7_I0+0+0+0+2:vgprValuA_X7_I0+0+0+0+2+1], 0 // Ai=-Ai
v_mfma_f64_4x4x4f64 v[0+0:1+0], v[vgprValuB_X7_I0+0+0+0:vgprValuB_X7_I0+0+0+0+1], v[vgprValuA_X7_I0+0+0+0:vgprValuA_X7_I0+0+0+0+1], v[0:1]
 // Cr += Ar*Br
v_mfma_f64_4x4x4f64 v[2+0:3+0], v[vgprValuB_X7_I0+0+0+0:vgprValuB_X7_I0+0+0+0+1], v[108:109], v[2:3]
 // Ci += -Ai*Br
v_mfma_f64_4x4x4f64 v[0+0:1+0], v[vgprValuB_X7_I0+0+0+0+2:vgprValuB_X7_I0+0+0+0+2+1], v[vgprValuA_X7_I0+0+0+0+2:vgprValuA_X7_I0+0+0+0+2+1], v[0:1]
 // Cr += Ai*Bi
v_mfma_f64_4x4x4f64 v[2+0:3+0], v[vgprValuB_X7_I0+0+0+0+2:vgprValuB_X7_I0+0+0+0+2+1], v[vgprValuA_X7_I0+0+0+0:vgprValuA_X7_I0+0+0+0+1], v[2:3]
 // Ci += Ar*Bi


/* closeLoop loopL finalLoop=1 tailLoop=1 */
s_sub_i32 s[sgprLoopCounterL], s[sgprLoopCounterL], 0x4 // dec counterL (tailLoop)
s_add_u32 s[sgprOrigLoopCounter], s[sgprOrigLoopCounter], 0x4 // inc counterL
s_cmp_le_i32 s[sgprLoopCounterL], 0x0              // counterL<=0
s_cbranch_scc0 TailLoopBeginL_6                    // restart LoopL
TailLoopEndL_7:

SkipTailLoopL_8:

Summation_End_19:
/* endSummation: add vgpr [4...104) to pool */
.set NumFullBlocks, UNDEF
.set WgmRemainder1, UNDEF
.set MagicNumberWgmRemainder1, UNDEF
.set ScalarGlobalReadOffsetB, UNDEF

/* Mapping of Acc register -> C Vgpr register */

/* Rearrange MI out register -> C Vgpr register */


	;; [unrolled: 1-line block ×3, first 2 shown]
/* not-LocalSplitU: global write indices */

/* computeStoreVgprs */
v_lshrrev_b32 v8, 6, v[vgprSerial]                 // v8 = v[vgprSerial] / 64
v_and_b32 v5, 63, v[vgprSerial]                    // v5 = v[vgprSerial] % 64
v_lshrrev_b32 v5, 3, v5                            // v5 = v5 / 8
                                                   // thread0 * continuous_output (multiplier is 1, do nothing)
v_lshrrev_b32 v9, 1, v5                            // v9 = v5 / 2
v_and_b32 v5, 1, v5                                // v5 = v5 % 2
v_lshlrev_b32 v5, 0x2, v5                          // (tid1%MIBN)*(MIN//MIOVW)
_v_add_u32 v5, v9, v5                              // tid1 = (tid1/MIBN) + (tid1%MIBN)*MIN
v_lshrrev_b32 v9, 0, v8                            // v9 = v8 / 1
v_mul_lo_u32 v9, 0x8, v9                           // wave coordination offset 1
_v_add_lshl_u32 v5, v9, v5, 0                      // coordination 1 = vwb *(wave_id1 + tid1)
v_mul_lo_u32 v6, v5, s[sgprStrideC1J]              //  offset 1
v_mul_lo_u32 v7, v5, s[sgprStrideD1J]              //  offset 1
v_and_b32 v9, 0, v8                                // v9 = v8 % 1
v_and_b32 v4, 7, v[vgprSerial]                     // v4 = v[vgprSerial] % 8
_v_add_lshl_u32 v4, v9, v4, 0                      // coordination 0 = vwa *(wave_id0 + tid0)
s_mul_i32 s10, 8, s[sgprWorkGroup0]                // wgp0 * MT0
_v_add_u32 v4, s10, v4                             // coord 0 = (tid0/MI_m)*4 + waveG0*MIB_m + MT0*SG0
s_mul_i32 s10, 8, s[sgprWorkGroup1]                // wgp1 * MT1
_v_add_u32 v5, s10, v5                             // coord 1 = (tid0%MI_m) + waveG1*MIB_n + MT1*SG1


/* not-LocalSplitU: global write */

s_and_b32 s62, 7, s[sgprSizeI]                     // s62 = s[sgprSizeI] % 8
s_add_u32 s63, -0x1, s[sgprNumWorkGroups0]         // 
s_cmp_ge_u32 s[sgprWorkGroup0], s63                // wg0 >= nwg0-1 ?
s_cselect_b32 s62, s62, 0                          // set rMT0
s_cmpk_gt_u32 s62, 0x0                             // rMT0 > 0
s_cbranch_scc1 GW_B0_E1_25                         // jump if edges required
s_and_b32 s62, 7, s[sgprSizeJ]                     // s62 = s[sgprSizeJ] % 8
s_add_u32 s63, -0x1, s[sgprNumWorkGroups1]         // 
s_cmp_ge_u32 s[sgprWorkGroup1], s63                // wg1 >= nwg1-1
s_cselect_b32 s62, s62, 0                          // set rMT1
s_cmpk_gt_u32 s62, 0x0                             // rMT1 > 0
s_cbranch_scc1 GW_B0_E1_25                         // jump if edges required
GW_B0_E0_22:

/* edge=0, allocate 2 sgpr. perBatchTmpS=2 perBatchMaskS=0 perElementMaskS=0 elementsPerBatch=4 */
/* optSingleColVgpr=1 optSharedColVgpr=0 optSGPRUsage=BufferLoad_Mask optSrdIncForRow=1 */

/******************************************/
/* Global Write Alpha Batch #0 (d1,d0,vc1,vc0) = */
/*    (0,0,0,0:vw1)                       */
/******************************************/

/* calc coords, apply mask, and issue loads (if necessary) */
/* (d1,vc1,d0,vc0)=(0,0,0,0) */
_v_add_lshl_u32 v10, v7, v4, 0x4                   // optSingleColVgpr scaleToBpe: sharedAddrVgpr <- cinRowPtr + coord0, scaled by BPE. BSHERE:coord0=4, coord0Vgpr=4
v_mov_b32 v[vgprValuC+12], v[vgprValuC+0] // copy MI out reg to vreg[0]
v_mov_b32 v[vgprValuC+13], v[vgprValuC+1] // copy MI out reg to vreg[1]
	;; [unrolled: 1-line block ×4, first 2 shown]

/* rC *= alpha batchElements=[(0, 0, 0, 0)] */

/* apply mask, calc new C and issue writes */
_buffer_store_b128 v[12:15], v10, s[sgprSrdD:sgprSrdD+3], 0, offen, offset:0 // store D
s_nop 0                                            // 1 wait state required when next inst writes vgprs held by previous dwordx4 store inst
s_branch label_GW_End_27                           // jump to end
GW_B0_E1_25:

/* edge=1, allocate 6 sgpr. perBatchTmpS=4 perBatchMaskS=2 perElementMaskS=0 elementsPerBatch=4 */
/* optSingleColVgpr=0 optSharedColVgpr=0 optSGPRUsage=BufferLoad_Edge_Mask optSrdIncForRow=0 */

/******************************************/
/* Global Write Alpha Edge Batch #0 (d1,d0,vc1,vc0) = */
/*    (0,0,0,0:vw1)                       */
/******************************************/

/* calc coords, apply mask, and issue loads (if necessary) */
/* (d1,vc1,d0,vc0)=(0,0,0,0) */
v_cmp_lt_u32 s[62:63], v4, s[sgprSizeI]            // coord0 < size0
v_cmp_lt_u32 s[66:67], v5, s[sgprSizeJ]            // coord1 < size1
s_and_b64 s[66:67], s[62:63], s[66:67]             // in0 && in1
_v_add_lshl_u32 v10, v7, v4, 0x4                   // scaleToBpe: accumulate d0 lower and *= bpe into Cin addr
v_cndmask_b32 v10, -1, v10, s[66:67]               // LDD clip if OOB. offset
v_mov_b32 v[vgprValuC+12], v[vgprValuC+0] // copy MI out reg to vreg[0]
v_mov_b32 v[vgprValuC+13], v[vgprValuC+1] // copy MI out reg to vreg[1]
	;; [unrolled: 1-line block ×4, first 2 shown]

/* rC *= alpha batchElements=[(0, 0, 0, 0)] */

/* apply mask, calc new C and issue writes */
_buffer_store_b128 v[12:15], v10, s[sgprSrdD:sgprSrdD+3], 0, offen, offset:0 // store D
s_nop 0                                            // 1 wait state required when next inst writes vgprs held by previous dwordx4 store inst
s_branch label_GW_End_27                           // jump to end
label_GW_End_27:

label_0032:  /// KernelEnd
s_endpgm                                           // Kernel End

